;; amdgpu-corpus repo=ROCm/rocFFT kind=compiled arch=gfx1100 opt=O3
	.text
	.amdgcn_target "amdgcn-amd-amdhsa--gfx1100"
	.amdhsa_code_object_version 6
	.protected	fft_rtc_back_len1156_factors_17_2_17_2_wgs_204_tpt_68_halfLds_dp_op_CI_CI_unitstride_sbrr_dirReg ; -- Begin function fft_rtc_back_len1156_factors_17_2_17_2_wgs_204_tpt_68_halfLds_dp_op_CI_CI_unitstride_sbrr_dirReg
	.globl	fft_rtc_back_len1156_factors_17_2_17_2_wgs_204_tpt_68_halfLds_dp_op_CI_CI_unitstride_sbrr_dirReg
	.p2align	8
	.type	fft_rtc_back_len1156_factors_17_2_17_2_wgs_204_tpt_68_halfLds_dp_op_CI_CI_unitstride_sbrr_dirReg,@function
fft_rtc_back_len1156_factors_17_2_17_2_wgs_204_tpt_68_halfLds_dp_op_CI_CI_unitstride_sbrr_dirReg: ; @fft_rtc_back_len1156_factors_17_2_17_2_wgs_204_tpt_68_halfLds_dp_op_CI_CI_unitstride_sbrr_dirReg
; %bb.0:
	s_load_b128 s[4:7], s[0:1], 0x0
	v_mul_u32_u24_e32 v1, 0x3c4, v0
	s_clause 0x1
	s_load_b128 s[8:11], s[0:1], 0x58
	s_load_b128 s[16:19], s[0:1], 0x18
	v_mov_b32_e32 v4, 0
	v_lshrrev_b32_e32 v2, 16, v1
	v_mov_b32_e32 v1, 0
	s_delay_alu instid0(VALU_DEP_2) | instskip(NEXT) | instid1(VALU_DEP_2)
	v_mad_u64_u32 v[68:69], null, s15, 3, v[2:3]
	v_mov_b32_e32 v69, v1
	v_mov_b32_e32 v5, 0
	s_delay_alu instid0(VALU_DEP_2) | instskip(SKIP_2) | instid1(VALU_DEP_3)
	v_dual_mov_b32 v101, v69 :: v_dual_mov_b32 v100, v68
	s_waitcnt lgkmcnt(0)
	v_cmp_lt_u64_e64 s2, s[6:7], 2
	v_dual_mov_b32 v99, v5 :: v_dual_mov_b32 v98, v4
	s_delay_alu instid0(VALU_DEP_2)
	s_and_b32 vcc_lo, exec_lo, s2
	s_cbranch_vccnz .LBB0_8
; %bb.1:
	s_load_b64 s[2:3], s[0:1], 0x10
	v_mov_b32_e32 v4, 0
	v_dual_mov_b32 v5, 0 :: v_dual_mov_b32 v6, v68
	s_add_u32 s12, s18, 8
	s_addc_u32 s13, s19, 0
	v_mov_b32_e32 v7, v69
	s_add_u32 s14, s16, 8
	v_dual_mov_b32 v99, v5 :: v_dual_mov_b32 v98, v4
	s_addc_u32 s15, s17, 0
	s_mov_b64 s[22:23], 1
	s_waitcnt lgkmcnt(0)
	s_add_u32 s20, s2, 8
	s_addc_u32 s21, s3, 0
.LBB0_2:                                ; =>This Inner Loop Header: Depth=1
	s_load_b64 s[24:25], s[20:21], 0x0
                                        ; implicit-def: $vgpr100_vgpr101
	s_mov_b32 s2, exec_lo
	s_waitcnt lgkmcnt(0)
	v_or_b32_e32 v2, s25, v7
	s_delay_alu instid0(VALU_DEP_1)
	v_cmpx_ne_u64_e32 0, v[1:2]
	s_xor_b32 s3, exec_lo, s2
	s_cbranch_execz .LBB0_4
; %bb.3:                                ;   in Loop: Header=BB0_2 Depth=1
	v_cvt_f32_u32_e32 v2, s24
	v_cvt_f32_u32_e32 v3, s25
	s_sub_u32 s2, 0, s24
	s_subb_u32 s26, 0, s25
	s_delay_alu instid0(VALU_DEP_1) | instskip(NEXT) | instid1(VALU_DEP_1)
	v_fmac_f32_e32 v2, 0x4f800000, v3
	v_rcp_f32_e32 v2, v2
	s_waitcnt_depctr 0xfff
	v_mul_f32_e32 v2, 0x5f7ffffc, v2
	s_delay_alu instid0(VALU_DEP_1) | instskip(NEXT) | instid1(VALU_DEP_1)
	v_mul_f32_e32 v3, 0x2f800000, v2
	v_trunc_f32_e32 v3, v3
	s_delay_alu instid0(VALU_DEP_1) | instskip(SKIP_1) | instid1(VALU_DEP_2)
	v_fmac_f32_e32 v2, 0xcf800000, v3
	v_cvt_u32_f32_e32 v3, v3
	v_cvt_u32_f32_e32 v2, v2
	s_delay_alu instid0(VALU_DEP_2) | instskip(NEXT) | instid1(VALU_DEP_2)
	v_mul_lo_u32 v8, s2, v3
	v_mul_hi_u32 v9, s2, v2
	v_mul_lo_u32 v10, s26, v2
	s_delay_alu instid0(VALU_DEP_2) | instskip(SKIP_1) | instid1(VALU_DEP_2)
	v_add_nc_u32_e32 v8, v9, v8
	v_mul_lo_u32 v9, s2, v2
	v_add_nc_u32_e32 v8, v8, v10
	s_delay_alu instid0(VALU_DEP_2) | instskip(NEXT) | instid1(VALU_DEP_2)
	v_mul_hi_u32 v10, v2, v9
	v_mul_lo_u32 v11, v2, v8
	v_mul_hi_u32 v12, v2, v8
	v_mul_hi_u32 v13, v3, v9
	v_mul_lo_u32 v9, v3, v9
	v_mul_hi_u32 v14, v3, v8
	v_mul_lo_u32 v8, v3, v8
	v_add_co_u32 v10, vcc_lo, v10, v11
	v_add_co_ci_u32_e32 v11, vcc_lo, 0, v12, vcc_lo
	s_delay_alu instid0(VALU_DEP_2) | instskip(NEXT) | instid1(VALU_DEP_2)
	v_add_co_u32 v9, vcc_lo, v10, v9
	v_add_co_ci_u32_e32 v9, vcc_lo, v11, v13, vcc_lo
	v_add_co_ci_u32_e32 v10, vcc_lo, 0, v14, vcc_lo
	s_delay_alu instid0(VALU_DEP_2) | instskip(NEXT) | instid1(VALU_DEP_2)
	v_add_co_u32 v8, vcc_lo, v9, v8
	v_add_co_ci_u32_e32 v9, vcc_lo, 0, v10, vcc_lo
	s_delay_alu instid0(VALU_DEP_2) | instskip(NEXT) | instid1(VALU_DEP_2)
	v_add_co_u32 v2, vcc_lo, v2, v8
	v_add_co_ci_u32_e32 v3, vcc_lo, v3, v9, vcc_lo
	s_delay_alu instid0(VALU_DEP_2) | instskip(SKIP_1) | instid1(VALU_DEP_3)
	v_mul_hi_u32 v8, s2, v2
	v_mul_lo_u32 v10, s26, v2
	v_mul_lo_u32 v9, s2, v3
	s_delay_alu instid0(VALU_DEP_1) | instskip(SKIP_1) | instid1(VALU_DEP_2)
	v_add_nc_u32_e32 v8, v8, v9
	v_mul_lo_u32 v9, s2, v2
	v_add_nc_u32_e32 v8, v8, v10
	s_delay_alu instid0(VALU_DEP_2) | instskip(NEXT) | instid1(VALU_DEP_2)
	v_mul_hi_u32 v10, v2, v9
	v_mul_lo_u32 v11, v2, v8
	v_mul_hi_u32 v12, v2, v8
	v_mul_hi_u32 v13, v3, v9
	v_mul_lo_u32 v9, v3, v9
	v_mul_hi_u32 v14, v3, v8
	v_mul_lo_u32 v8, v3, v8
	v_add_co_u32 v10, vcc_lo, v10, v11
	v_add_co_ci_u32_e32 v11, vcc_lo, 0, v12, vcc_lo
	s_delay_alu instid0(VALU_DEP_2) | instskip(NEXT) | instid1(VALU_DEP_2)
	v_add_co_u32 v9, vcc_lo, v10, v9
	v_add_co_ci_u32_e32 v9, vcc_lo, v11, v13, vcc_lo
	v_add_co_ci_u32_e32 v10, vcc_lo, 0, v14, vcc_lo
	s_delay_alu instid0(VALU_DEP_2) | instskip(NEXT) | instid1(VALU_DEP_2)
	v_add_co_u32 v8, vcc_lo, v9, v8
	v_add_co_ci_u32_e32 v9, vcc_lo, 0, v10, vcc_lo
	s_delay_alu instid0(VALU_DEP_2) | instskip(NEXT) | instid1(VALU_DEP_2)
	v_add_co_u32 v10, vcc_lo, v2, v8
	v_add_co_ci_u32_e32 v12, vcc_lo, v3, v9, vcc_lo
	s_delay_alu instid0(VALU_DEP_2) | instskip(SKIP_1) | instid1(VALU_DEP_3)
	v_mul_hi_u32 v13, v6, v10
	v_mad_u64_u32 v[8:9], null, v7, v10, 0
	v_mad_u64_u32 v[2:3], null, v6, v12, 0
	;; [unrolled: 1-line block ×3, first 2 shown]
	s_delay_alu instid0(VALU_DEP_2) | instskip(NEXT) | instid1(VALU_DEP_3)
	v_add_co_u32 v2, vcc_lo, v13, v2
	v_add_co_ci_u32_e32 v3, vcc_lo, 0, v3, vcc_lo
	s_delay_alu instid0(VALU_DEP_2) | instskip(NEXT) | instid1(VALU_DEP_2)
	v_add_co_u32 v2, vcc_lo, v2, v8
	v_add_co_ci_u32_e32 v2, vcc_lo, v3, v9, vcc_lo
	v_add_co_ci_u32_e32 v3, vcc_lo, 0, v11, vcc_lo
	s_delay_alu instid0(VALU_DEP_2) | instskip(NEXT) | instid1(VALU_DEP_2)
	v_add_co_u32 v8, vcc_lo, v2, v10
	v_add_co_ci_u32_e32 v9, vcc_lo, 0, v3, vcc_lo
	s_delay_alu instid0(VALU_DEP_2) | instskip(SKIP_1) | instid1(VALU_DEP_3)
	v_mul_lo_u32 v10, s25, v8
	v_mad_u64_u32 v[2:3], null, s24, v8, 0
	v_mul_lo_u32 v11, s24, v9
	s_delay_alu instid0(VALU_DEP_2) | instskip(NEXT) | instid1(VALU_DEP_2)
	v_sub_co_u32 v2, vcc_lo, v6, v2
	v_add3_u32 v3, v3, v11, v10
	s_delay_alu instid0(VALU_DEP_1) | instskip(NEXT) | instid1(VALU_DEP_1)
	v_sub_nc_u32_e32 v10, v7, v3
	v_subrev_co_ci_u32_e64 v10, s2, s25, v10, vcc_lo
	v_add_co_u32 v11, s2, v8, 2
	s_delay_alu instid0(VALU_DEP_1) | instskip(SKIP_3) | instid1(VALU_DEP_3)
	v_add_co_ci_u32_e64 v12, s2, 0, v9, s2
	v_sub_co_u32 v13, s2, v2, s24
	v_sub_co_ci_u32_e32 v3, vcc_lo, v7, v3, vcc_lo
	v_subrev_co_ci_u32_e64 v10, s2, 0, v10, s2
	v_cmp_le_u32_e32 vcc_lo, s24, v13
	s_delay_alu instid0(VALU_DEP_3) | instskip(SKIP_1) | instid1(VALU_DEP_4)
	v_cmp_eq_u32_e64 s2, s25, v3
	v_cndmask_b32_e64 v13, 0, -1, vcc_lo
	v_cmp_le_u32_e32 vcc_lo, s25, v10
	v_cndmask_b32_e64 v14, 0, -1, vcc_lo
	v_cmp_le_u32_e32 vcc_lo, s24, v2
	;; [unrolled: 2-line block ×3, first 2 shown]
	v_cndmask_b32_e64 v15, 0, -1, vcc_lo
	v_cmp_eq_u32_e32 vcc_lo, s25, v10
	s_delay_alu instid0(VALU_DEP_2) | instskip(SKIP_3) | instid1(VALU_DEP_3)
	v_cndmask_b32_e64 v2, v15, v2, s2
	v_cndmask_b32_e32 v10, v14, v13, vcc_lo
	v_add_co_u32 v13, vcc_lo, v8, 1
	v_add_co_ci_u32_e32 v14, vcc_lo, 0, v9, vcc_lo
	v_cmp_ne_u32_e32 vcc_lo, 0, v10
	s_delay_alu instid0(VALU_DEP_2) | instskip(SKIP_1) | instid1(VALU_DEP_2)
	v_dual_cndmask_b32 v3, v14, v12 :: v_dual_cndmask_b32 v10, v13, v11
	v_cmp_ne_u32_e32 vcc_lo, 0, v2
	v_dual_cndmask_b32 v101, v9, v3 :: v_dual_cndmask_b32 v100, v8, v10
.LBB0_4:                                ;   in Loop: Header=BB0_2 Depth=1
	s_and_not1_saveexec_b32 s2, s3
	s_cbranch_execz .LBB0_6
; %bb.5:                                ;   in Loop: Header=BB0_2 Depth=1
	v_cvt_f32_u32_e32 v2, s24
	s_sub_i32 s3, 0, s24
	v_mov_b32_e32 v101, v1
	s_delay_alu instid0(VALU_DEP_2) | instskip(SKIP_2) | instid1(VALU_DEP_1)
	v_rcp_iflag_f32_e32 v2, v2
	s_waitcnt_depctr 0xfff
	v_mul_f32_e32 v2, 0x4f7ffffe, v2
	v_cvt_u32_f32_e32 v2, v2
	s_delay_alu instid0(VALU_DEP_1) | instskip(NEXT) | instid1(VALU_DEP_1)
	v_mul_lo_u32 v3, s3, v2
	v_mul_hi_u32 v3, v2, v3
	s_delay_alu instid0(VALU_DEP_1) | instskip(NEXT) | instid1(VALU_DEP_1)
	v_add_nc_u32_e32 v2, v2, v3
	v_mul_hi_u32 v2, v6, v2
	s_delay_alu instid0(VALU_DEP_1) | instskip(SKIP_1) | instid1(VALU_DEP_2)
	v_mul_lo_u32 v3, v2, s24
	v_add_nc_u32_e32 v8, 1, v2
	v_sub_nc_u32_e32 v3, v6, v3
	s_delay_alu instid0(VALU_DEP_1) | instskip(SKIP_1) | instid1(VALU_DEP_2)
	v_subrev_nc_u32_e32 v9, s24, v3
	v_cmp_le_u32_e32 vcc_lo, s24, v3
	v_dual_cndmask_b32 v3, v3, v9 :: v_dual_cndmask_b32 v2, v2, v8
	s_delay_alu instid0(VALU_DEP_1) | instskip(NEXT) | instid1(VALU_DEP_2)
	v_cmp_le_u32_e32 vcc_lo, s24, v3
	v_add_nc_u32_e32 v8, 1, v2
	s_delay_alu instid0(VALU_DEP_1)
	v_cndmask_b32_e32 v100, v2, v8, vcc_lo
.LBB0_6:                                ;   in Loop: Header=BB0_2 Depth=1
	s_or_b32 exec_lo, exec_lo, s2
	s_delay_alu instid0(VALU_DEP_1) | instskip(NEXT) | instid1(VALU_DEP_2)
	v_mul_lo_u32 v8, v101, s24
	v_mul_lo_u32 v9, v100, s25
	s_load_b64 s[2:3], s[14:15], 0x0
	v_mad_u64_u32 v[2:3], null, v100, s24, 0
	s_load_b64 s[24:25], s[12:13], 0x0
	s_add_u32 s22, s22, 1
	s_addc_u32 s23, s23, 0
	s_add_u32 s12, s12, 8
	s_addc_u32 s13, s13, 0
	s_add_u32 s14, s14, 8
	s_delay_alu instid0(VALU_DEP_1) | instskip(SKIP_3) | instid1(VALU_DEP_2)
	v_add3_u32 v3, v3, v9, v8
	v_sub_co_u32 v8, vcc_lo, v6, v2
	s_addc_u32 s15, s15, 0
	s_add_u32 s20, s20, 8
	v_sub_co_ci_u32_e32 v6, vcc_lo, v7, v3, vcc_lo
	s_addc_u32 s21, s21, 0
	s_waitcnt lgkmcnt(0)
	s_delay_alu instid0(VALU_DEP_1)
	v_mul_lo_u32 v9, s2, v6
	v_mul_lo_u32 v10, s3, v8
	v_mad_u64_u32 v[2:3], null, s2, v8, v[4:5]
	v_mul_lo_u32 v11, s24, v6
	v_mul_lo_u32 v12, s25, v8
	v_mad_u64_u32 v[6:7], null, s24, v8, v[98:99]
	v_cmp_ge_u64_e64 s2, s[22:23], s[6:7]
	v_add3_u32 v5, v10, v3, v9
	v_mov_b32_e32 v4, v2
	s_delay_alu instid0(VALU_DEP_4)
	v_add3_u32 v99, v12, v7, v11
	v_mov_b32_e32 v98, v6
	s_and_b32 vcc_lo, exec_lo, s2
	s_cbranch_vccnz .LBB0_8
; %bb.7:                                ;   in Loop: Header=BB0_2 Depth=1
	v_dual_mov_b32 v6, v100 :: v_dual_mov_b32 v7, v101
	s_branch .LBB0_2
.LBB0_8:
	s_load_b64 s[0:1], s[0:1], 0x28
	v_mul_hi_u32 v1, 0x3c3c3c4, v0
	s_lshl_b64 s[6:7], s[6:7], 3
                                        ; implicit-def: $vgpr96
	s_delay_alu instid0(SALU_CYCLE_1) | instskip(SKIP_4) | instid1(VALU_DEP_1)
	s_add_u32 s2, s18, s6
	s_addc_u32 s3, s19, s7
	s_waitcnt lgkmcnt(0)
	v_cmp_gt_u64_e32 vcc_lo, s[0:1], v[100:101]
	v_cmp_le_u64_e64 s0, s[0:1], v[100:101]
	s_and_saveexec_b32 s1, s0
	s_delay_alu instid0(SALU_CYCLE_1)
	s_xor_b32 s0, exec_lo, s1
; %bb.9:
	v_mul_u32_u24_e32 v1, 0x44, v1
                                        ; implicit-def: $vgpr4_vgpr5
	s_delay_alu instid0(VALU_DEP_1)
	v_sub_nc_u32_e32 v96, v0, v1
                                        ; implicit-def: $vgpr1
                                        ; implicit-def: $vgpr0
; %bb.10:
	s_or_saveexec_b32 s1, s0
                                        ; implicit-def: $vgpr2_vgpr3
                                        ; implicit-def: $vgpr6_vgpr7
                                        ; implicit-def: $vgpr10_vgpr11
                                        ; implicit-def: $vgpr18_vgpr19
                                        ; implicit-def: $vgpr22_vgpr23
                                        ; implicit-def: $vgpr26_vgpr27
                                        ; implicit-def: $vgpr30_vgpr31
                                        ; implicit-def: $vgpr34_vgpr35
                                        ; implicit-def: $vgpr38_vgpr39
                                        ; implicit-def: $vgpr42_vgpr43
                                        ; implicit-def: $vgpr58_vgpr59
                                        ; implicit-def: $vgpr62_vgpr63
                                        ; implicit-def: $vgpr66_vgpr67
                                        ; implicit-def: $vgpr54_vgpr55
                                        ; implicit-def: $vgpr50_vgpr51
                                        ; implicit-def: $vgpr46_vgpr47
                                        ; implicit-def: $vgpr14_vgpr15
	s_delay_alu instid0(SALU_CYCLE_1)
	s_xor_b32 exec_lo, exec_lo, s1
	s_cbranch_execz .LBB0_12
; %bb.11:
	s_add_u32 s6, s16, s6
	s_addc_u32 s7, s17, s7
	s_load_b64 s[6:7], s[6:7], 0x0
	s_waitcnt lgkmcnt(0)
	v_mul_lo_u32 v6, s7, v100
	v_mul_lo_u32 v7, s6, v101
	v_mad_u64_u32 v[2:3], null, s6, v100, 0
	s_delay_alu instid0(VALU_DEP_1) | instskip(SKIP_1) | instid1(VALU_DEP_2)
	v_add3_u32 v3, v3, v7, v6
	v_mul_u32_u24_e32 v6, 0x44, v1
	v_lshlrev_b64 v[1:2], 4, v[2:3]
	v_lshlrev_b64 v[3:4], 4, v[4:5]
	s_delay_alu instid0(VALU_DEP_3) | instskip(NEXT) | instid1(VALU_DEP_3)
	v_sub_nc_u32_e32 v96, v0, v6
	v_add_co_u32 v0, s0, s8, v1
	s_delay_alu instid0(VALU_DEP_1) | instskip(NEXT) | instid1(VALU_DEP_3)
	v_add_co_ci_u32_e64 v1, s0, s9, v2, s0
	v_lshlrev_b32_e32 v2, 4, v96
	s_delay_alu instid0(VALU_DEP_3) | instskip(NEXT) | instid1(VALU_DEP_1)
	v_add_co_u32 v0, s0, v0, v3
	v_add_co_ci_u32_e64 v1, s0, v1, v4, s0
	s_delay_alu instid0(VALU_DEP_2) | instskip(NEXT) | instid1(VALU_DEP_1)
	v_add_co_u32 v0, s0, v0, v2
	v_add_co_ci_u32_e64 v1, s0, 0, v1, s0
	s_clause 0x3
	global_load_b128 v[12:15], v[0:1], off
	global_load_b128 v[44:47], v[0:1], off offset:1088
	global_load_b128 v[48:51], v[0:1], off offset:2176
	global_load_b128 v[52:55], v[0:1], off offset:3264
	v_add_co_u32 v2, s0, 0x1000, v0
	s_delay_alu instid0(VALU_DEP_1) | instskip(SKIP_1) | instid1(VALU_DEP_1)
	v_add_co_ci_u32_e64 v3, s0, 0, v1, s0
	v_add_co_u32 v4, s0, 0x2000, v0
	v_add_co_ci_u32_e64 v5, s0, 0, v1, s0
	v_add_co_u32 v6, s0, 0x3000, v0
	s_delay_alu instid0(VALU_DEP_1) | instskip(SKIP_1) | instid1(VALU_DEP_1)
	v_add_co_ci_u32_e64 v7, s0, 0, v1, s0
	v_add_co_u32 v0, s0, 0x4000, v0
	v_add_co_ci_u32_e64 v1, s0, 0, v1, s0
	s_clause 0xc
	global_load_b128 v[64:67], v[2:3], off offset:256
	global_load_b128 v[60:63], v[2:3], off offset:1344
	;; [unrolled: 1-line block ×13, first 2 shown]
.LBB0_12:
	s_or_b32 exec_lo, exec_lo, s1
	s_waitcnt vmcnt(15)
	v_add_f64 v[69:70], v[44:45], v[12:13]
	s_waitcnt vmcnt(0)
	v_add_f64 v[71:72], v[46:47], -v[2:3]
	s_mov_b32 s42, 0xeb564b22
	s_mov_b32 s24, 0x923c349f
	;; [unrolled: 1-line block ×9, first 2 shown]
	v_add_f64 v[73:74], v[0:1], v[44:45]
	v_add_f64 v[75:76], v[50:51], -v[6:7]
	s_mov_b32 s39, 0xbfc7851a
	s_mov_b32 s52, 0x7c9e640b
	;; [unrolled: 1-line block ×24, first 2 shown]
	v_add_f64 v[77:78], v[4:5], v[48:49]
	v_add_f64 v[69:70], v[48:49], v[69:70]
	v_mul_f64 v[110:111], v[71:72], s[42:43]
	v_mul_f64 v[112:113], v[71:72], s[24:25]
	;; [unrolled: 1-line block ×8, first 2 shown]
	s_mov_b32 s19, 0xbfef7484
	v_add_f64 v[79:80], v[54:55], -v[10:11]
	s_mov_b32 s14, 0x2b2883cd
	v_mul_f64 v[122:123], v[75:76], s[38:39]
	v_mul_f64 v[126:127], v[75:76], s[54:55]
	;; [unrolled: 1-line block ×8, first 2 shown]
	s_mov_b32 s20, 0x75d4884
	s_mov_b32 s22, 0x370991
	;; [unrolled: 1-line block ×9, first 2 shown]
	v_add_f64 v[81:82], v[8:9], v[52:53]
	v_add_f64 v[83:84], v[66:67], -v[18:19]
	s_mov_b32 s47, 0x3fe9895b
	s_mov_b32 s46, s30
	v_add_f64 v[85:86], v[16:17], v[64:65]
	v_add_f64 v[87:88], v[62:63], -v[22:23]
	s_mov_b32 s27, 0x3fefdd0d
	s_mov_b32 s26, s42
	v_add_f64 v[89:90], v[20:21], v[60:61]
	v_add_f64 v[69:70], v[52:53], v[69:70]
	v_fma_f64 v[174:175], v[73:74], s[6:7], v[110:111]
	v_fma_f64 v[176:177], v[73:74], s[8:9], v[112:113]
	;; [unrolled: 1-line block ×4, first 2 shown]
	v_fma_f64 v[114:115], v[73:74], s[12:13], -v[114:115]
	v_fma_f64 v[182:183], v[73:74], s[18:19], v[118:119]
	v_fma_f64 v[118:119], v[73:74], s[18:19], -v[118:119]
	v_fma_f64 v[116:117], v[73:74], s[16:17], -v[116:117]
	;; [unrolled: 1-line block ×4, first 2 shown]
	v_fma_f64 v[184:185], v[73:74], s[22:23], v[120:121]
	v_fma_f64 v[186:187], v[73:74], s[20:21], -v[124:125]
	v_fma_f64 v[188:189], v[73:74], s[14:15], -v[71:72]
	;; [unrolled: 1-line block ×3, first 2 shown]
	v_fma_f64 v[124:125], v[73:74], s[20:21], v[124:125]
	v_fma_f64 v[71:72], v[73:74], s[14:15], v[71:72]
	v_mul_f64 v[132:133], v[79:80], s[50:51]
	v_mul_f64 v[134:135], v[79:80], s[34:35]
	;; [unrolled: 1-line block ×8, first 2 shown]
	v_fma_f64 v[196:197], v[77:78], s[18:19], v[122:123]
	v_fma_f64 v[198:199], v[77:78], s[16:17], v[126:127]
	;; [unrolled: 1-line block ×4, first 2 shown]
	v_fma_f64 v[128:129], v[77:78], s[8:9], -v[128:129]
	v_fma_f64 v[130:131], v[77:78], s[14:15], -v[130:131]
	v_fma_f64 v[204:205], v[77:78], s[22:23], v[156:157]
	v_fma_f64 v[156:157], v[77:78], s[22:23], -v[156:157]
	v_fma_f64 v[206:207], v[77:78], s[20:21], v[160:161]
	;; [unrolled: 2-line block ×4, first 2 shown]
	v_add_f64 v[69:70], v[64:65], v[69:70]
	v_fma_f64 v[75:76], v[77:78], s[12:13], -v[75:76]
	v_fma_f64 v[122:123], v[77:78], s[18:19], -v[122:123]
	;; [unrolled: 1-line block ×3, first 2 shown]
	v_add_f64 v[126:127], v[12:13], v[174:175]
	v_add_f64 v[174:175], v[12:13], v[176:177]
	;; [unrolled: 1-line block ×16, first 2 shown]
	v_mul_f64 v[140:141], v[83:84], s[40:41]
	v_mul_f64 v[142:143], v[83:84], s[52:53]
	v_fma_f64 v[216:217], v[81:82], s[8:9], v[132:133]
	v_fma_f64 v[218:219], v[81:82], s[20:21], v[134:135]
	;; [unrolled: 1-line block ×4, first 2 shown]
	v_fma_f64 v[136:137], v[81:82], s[22:23], -v[136:137]
	v_fma_f64 v[138:139], v[81:82], s[6:7], -v[138:139]
	v_fma_f64 v[224:225], v[81:82], s[16:17], v[190:191]
	v_fma_f64 v[190:191], v[81:82], s[16:17], -v[190:191]
	v_fma_f64 v[226:227], v[81:82], s[14:15], v[192:193]
	;; [unrolled: 2-line block ×4, first 2 shown]
	v_fma_f64 v[79:80], v[81:82], s[18:19], -v[79:80]
	v_fma_f64 v[132:133], v[81:82], s[8:9], -v[132:133]
	;; [unrolled: 1-line block ×3, first 2 shown]
	v_add_f64 v[69:70], v[60:61], v[69:70]
	v_mul_f64 v[144:145], v[83:84], s[36:37]
	v_mul_f64 v[146:147], v[83:84], s[46:47]
	;; [unrolled: 1-line block ×3, first 2 shown]
	v_add_f64 v[126:127], v[196:197], v[126:127]
	v_add_f64 v[134:135], v[198:199], v[174:175]
	v_mul_f64 v[212:213], v[83:84], s[42:43]
	v_mul_f64 v[214:215], v[83:84], s[38:39]
	;; [unrolled: 1-line block ×3, first 2 shown]
	v_add_f64 v[174:175], v[200:201], v[176:177]
	v_add_f64 v[176:177], v[202:203], v[178:179]
	;; [unrolled: 1-line block ×14, first 2 shown]
	v_add_f64 v[91:92], v[58:59], -v[26:27]
	v_mul_f64 v[148:149], v[87:88], s[52:53]
	v_mul_f64 v[150:151], v[87:88], s[38:39]
	v_fma_f64 v[178:179], v[85:86], s[22:23], v[140:141]
	v_fma_f64 v[180:181], v[85:86], s[14:15], v[142:143]
	v_mul_f64 v[152:153], v[87:88], s[26:27]
	v_mul_f64 v[154:155], v[87:88], s[44:45]
	;; [unrolled: 1-line block ×6, first 2 shown]
	v_fma_f64 v[140:141], v[85:86], s[22:23], -v[140:141]
	v_add_f64 v[93:94], v[24:25], v[56:57]
	v_add_f64 v[102:103], v[42:43], -v[30:31]
	v_add_f64 v[104:105], v[28:29], v[40:41]
	v_add_f64 v[69:70], v[56:57], v[69:70]
	v_fma_f64 v[182:183], v[85:86], s[16:17], v[144:145]
	v_fma_f64 v[184:185], v[85:86], s[12:13], v[146:147]
	v_fma_f64 v[144:145], v[85:86], s[16:17], -v[144:145]
	v_add_f64 v[126:127], v[216:217], v[126:127]
	v_add_f64 v[134:135], v[218:219], v[134:135]
	v_fma_f64 v[146:147], v[85:86], s[12:13], -v[146:147]
	v_fma_f64 v[186:187], v[85:86], s[20:21], v[188:189]
	v_fma_f64 v[188:189], v[85:86], s[20:21], -v[188:189]
	v_fma_f64 v[196:197], v[85:86], s[6:7], v[212:213]
	;; [unrolled: 2-line block ×4, first 2 shown]
	v_fma_f64 v[83:84], v[85:86], s[8:9], -v[83:84]
	v_fma_f64 v[85:86], v[85:86], s[14:15], -v[142:143]
	v_add_f64 v[142:143], v[220:221], v[174:175]
	v_add_f64 v[174:175], v[222:223], v[176:177]
	v_add_f64 v[114:115], v[136:137], v[114:115]
	v_add_f64 v[128:129], v[224:225], v[128:129]
	v_add_f64 v[118:119], v[190:191], v[118:119]
	v_add_f64 v[116:117], v[138:139], v[116:117]
	v_add_f64 v[110:111], v[132:133], v[110:111]
	v_add_f64 v[77:78], v[81:82], v[77:78]
	v_add_f64 v[130:131], v[226:227], v[130:131]
	v_add_f64 v[136:137], v[194:195], v[156:157]
	v_add_f64 v[75:76], v[79:80], v[75:76]
	v_add_f64 v[120:121], v[192:193], v[120:121]
	v_add_f64 v[79:80], v[228:229], v[112:113]
	v_add_f64 v[12:13], v[230:231], v[12:13]
	v_mul_f64 v[158:159], v[91:92], s[36:37]
	v_mul_f64 v[162:163], v[91:92], s[26:27]
	v_fma_f64 v[156:157], v[89:90], s[14:15], v[148:149]
	v_fma_f64 v[176:177], v[89:90], s[18:19], v[150:151]
	v_mul_f64 v[166:167], v[91:92], s[48:49]
	v_mul_f64 v[168:169], v[91:92], s[38:39]
	v_fma_f64 v[190:191], v[89:90], s[6:7], v[152:153]
	v_fma_f64 v[192:193], v[89:90], s[22:23], v[154:155]
	v_add_f64 v[69:70], v[40:41], v[69:70]
	v_fma_f64 v[152:153], v[89:90], s[6:7], -v[152:153]
	v_fma_f64 v[154:155], v[89:90], s[22:23], -v[154:155]
	v_fma_f64 v[194:195], v[89:90], s[12:13], v[124:125]
	v_add_f64 v[126:127], v[178:179], v[126:127]
	v_add_f64 v[134:135], v[180:181], v[134:135]
	v_fma_f64 v[124:125], v[89:90], s[12:13], -v[124:125]
	v_fma_f64 v[206:207], v[89:90], s[8:9], v[160:161]
	v_fma_f64 v[160:161], v[89:90], s[8:9], -v[160:161]
	v_fma_f64 v[208:209], v[89:90], s[16:17], v[164:165]
	;; [unrolled: 2-line block ×3, first 2 shown]
	v_fma_f64 v[87:88], v[89:90], s[20:21], -v[87:88]
	v_fma_f64 v[148:149], v[89:90], s[14:15], -v[148:149]
	;; [unrolled: 1-line block ×3, first 2 shown]
	v_mul_f64 v[112:113], v[91:92], s[28:29]
	v_add_f64 v[142:143], v[182:183], v[142:143]
	v_add_f64 v[150:151], v[184:185], v[174:175]
	;; [unrolled: 1-line block ×6, first 2 shown]
	v_mul_f64 v[132:133], v[91:92], s[30:31]
	v_mul_f64 v[138:139], v[91:92], s[50:51]
	;; [unrolled: 1-line block ×3, first 2 shown]
	v_add_f64 v[110:111], v[140:141], v[110:111]
	v_add_f64 v[77:78], v[85:86], v[77:78]
	;; [unrolled: 1-line block ×8, first 2 shown]
	v_add_f64 v[106:107], v[38:39], -v[34:35]
	v_mul_f64 v[170:171], v[102:103], s[46:47]
	v_mul_f64 v[172:173], v[102:103], s[44:45]
	v_fma_f64 v[146:147], v[93:94], s[16:17], v[158:159]
	v_fma_f64 v[174:175], v[93:94], s[6:7], v[162:163]
	v_add_f64 v[69:70], v[36:37], v[69:70]
	v_mul_f64 v[73:74], v[102:103], s[38:39]
	v_mul_f64 v[71:72], v[102:103], s[34:35]
	v_fma_f64 v[178:179], v[93:94], s[20:21], v[166:167]
	v_add_f64 v[126:127], v[156:157], v[126:127]
	v_add_f64 v[134:135], v[176:177], v[134:135]
	v_fma_f64 v[180:181], v[93:94], s[18:19], v[168:169]
	v_mul_f64 v[85:86], v[102:103], s[24:25]
	v_fma_f64 v[166:167], v[93:94], s[20:21], -v[166:167]
	v_fma_f64 v[168:169], v[93:94], s[18:19], -v[168:169]
	v_mul_f64 v[140:141], v[102:103], s[36:37]
	v_mul_f64 v[144:145], v[102:103], s[28:29]
	;; [unrolled: 1-line block ×3, first 2 shown]
	v_fma_f64 v[158:159], v[93:94], s[16:17], -v[158:159]
	v_add_f64 v[108:109], v[32:33], v[36:37]
	v_fma_f64 v[182:183], v[93:94], s[14:15], v[112:113]
	v_add_f64 v[142:143], v[190:191], v[142:143]
	v_add_f64 v[150:151], v[192:193], v[150:151]
	v_fma_f64 v[112:113], v[93:94], s[14:15], -v[112:113]
	v_add_f64 v[114:115], v[152:153], v[114:115]
	v_add_f64 v[128:129], v[194:195], v[128:129]
	;; [unrolled: 1-line block ×4, first 2 shown]
	v_fma_f64 v[184:185], v[93:94], s[12:13], v[132:133]
	v_fma_f64 v[132:133], v[93:94], s[12:13], -v[132:133]
	v_fma_f64 v[186:187], v[93:94], s[8:9], v[138:139]
	v_fma_f64 v[138:139], v[93:94], s[8:9], -v[138:139]
	;; [unrolled: 2-line block ×3, first 2 shown]
	v_fma_f64 v[93:94], v[93:94], s[6:7], -v[162:163]
	v_add_f64 v[110:111], v[148:149], v[110:111]
	v_add_f64 v[77:78], v[89:90], v[77:78]
	;; [unrolled: 1-line block ×9, first 2 shown]
	v_mul_f64 v[122:123], v[106:107], s[34:35]
	v_mul_f64 v[81:82], v[106:107], s[30:31]
	v_mul_f64 v[83:84], v[106:107], s[28:29]
	v_mul_f64 v[87:88], v[106:107], s[24:25]
	v_mul_f64 v[89:90], v[106:107], s[26:27]
	v_mul_f64 v[136:137], v[106:107], s[38:39]
	v_mul_f64 v[148:149], v[106:107], s[40:41]
	v_mul_f64 v[106:107], v[106:107], s[36:37]
	v_fma_f64 v[152:153], v[104:105], s[12:13], v[170:171]
	v_fma_f64 v[154:155], v[104:105], s[22:23], v[172:173]
	v_add_f64 v[126:127], v[146:147], v[126:127]
	v_add_f64 v[134:135], v[174:175], v[134:135]
	v_fma_f64 v[156:157], v[104:105], s[18:19], v[73:74]
	v_fma_f64 v[160:161], v[104:105], s[20:21], v[71:72]
	v_fma_f64 v[73:74], v[104:105], s[18:19], -v[73:74]
	v_add_f64 v[142:143], v[178:179], v[142:143]
	v_add_f64 v[146:147], v[180:181], v[150:151]
	v_fma_f64 v[162:163], v[104:105], s[8:9], v[85:86]
	v_fma_f64 v[85:86], v[104:105], s[8:9], -v[85:86]
	v_add_f64 v[114:115], v[166:167], v[114:115]
	v_add_f64 v[128:129], v[182:183], v[128:129]
	;; [unrolled: 1-line block ×3, first 2 shown]
	v_fma_f64 v[71:72], v[104:105], s[20:21], -v[71:72]
	v_add_f64 v[116:117], v[168:169], v[116:117]
	v_fma_f64 v[164:165], v[104:105], s[16:17], v[140:141]
	v_fma_f64 v[140:141], v[104:105], s[16:17], -v[140:141]
	v_fma_f64 v[176:177], v[104:105], s[14:15], v[144:145]
	v_fma_f64 v[144:145], v[104:105], s[14:15], -v[144:145]
	;; [unrolled: 2-line block ×3, first 2 shown]
	v_fma_f64 v[170:171], v[104:105], s[12:13], -v[170:171]
	v_fma_f64 v[104:105], v[104:105], s[22:23], -v[172:173]
	v_add_f64 v[110:111], v[158:159], v[110:111]
	v_add_f64 v[77:78], v[93:94], v[77:78]
	;; [unrolled: 1-line block ×9, first 2 shown]
	v_fma_f64 v[91:92], v[108:109], s[20:21], v[122:123]
	v_fma_f64 v[93:94], v[108:109], s[12:13], v[81:82]
	;; [unrolled: 1-line block ×4, first 2 shown]
	v_fma_f64 v[83:84], v[108:109], s[14:15], -v[83:84]
	v_fma_f64 v[138:139], v[108:109], s[6:7], v[89:90]
	v_fma_f64 v[89:90], v[108:109], s[6:7], -v[89:90]
	v_fma_f64 v[87:88], v[108:109], s[8:9], -v[87:88]
	v_fma_f64 v[150:151], v[108:109], s[18:19], v[136:137]
	v_fma_f64 v[136:137], v[108:109], s[18:19], -v[136:137]
	v_fma_f64 v[158:159], v[108:109], s[22:23], v[148:149]
	;; [unrolled: 2-line block ×3, first 2 shown]
	v_fma_f64 v[168:169], v[108:109], s[16:17], -v[106:107]
	v_fma_f64 v[122:123], v[108:109], s[20:21], -v[122:123]
	;; [unrolled: 1-line block ×3, first 2 shown]
	v_add_f64 v[106:107], v[152:153], v[126:127]
	v_add_f64 v[108:109], v[154:155], v[134:135]
	;; [unrolled: 1-line block ×8, first 2 shown]
	v_mul_hi_u32 v95, 0xaaaaaaab, v68
	s_load_b64 s[2:3], s[2:3], 0x0
	v_cmp_gt_u32_e64 s0, 34, v96
	v_add_f64 v[110:111], v[170:171], v[110:111]
	v_add_f64 v[77:78], v[104:105], v[77:78]
	;; [unrolled: 1-line block ×9, first 2 shown]
	v_lshrrev_b32_e32 v95, 1, v95
	s_delay_alu instid0(VALU_DEP_1)
	v_lshl_add_u32 v95, v95, 1, v95
	v_add_f64 v[91:92], v[91:92], v[106:107]
	v_add_f64 v[93:94], v[93:94], v[108:109]
	v_add_f64 v[108:109], v[130:131], v[126:127]
	v_add_f64 v[120:121], v[132:133], v[134:135]
	v_add_f64 v[73:74], v[83:84], v[73:74]
	v_add_f64 v[83:84], v[138:139], v[114:115]
	v_add_f64 v[85:86], v[89:90], v[85:86]
	v_add_f64 v[71:72], v[87:88], v[71:72]
	v_add_f64 v[110:111], v[122:123], v[110:111]
	v_add_f64 v[77:78], v[81:82], v[77:78]
	v_add_f64 v[87:88], v[150:151], v[112:113]
	v_add_f64 v[89:90], v[148:149], v[118:119]
	v_add_f64 v[75:76], v[168:169], v[75:76]
	v_add_f64 v[69:70], v[20:21], v[69:70]
	v_add_f64 v[106:107], v[136:137], v[116:117]
	v_add_f64 v[79:80], v[158:159], v[79:80]
	v_add_f64 v[81:82], v[166:167], v[12:13]
	v_sub_nc_u32_e32 v12, v68, v95
	v_lshlrev_b32_e32 v13, 3, v96
	s_delay_alu instid0(VALU_DEP_2) | instskip(NEXT) | instid1(VALU_DEP_1)
	v_mul_u32_u24_e32 v12, 0x484, v12
	v_lshlrev_b32_e32 v122, 3, v12
	s_delay_alu instid0(VALU_DEP_1) | instskip(NEXT) | instid1(VALU_DEP_4)
	v_add_nc_u32_e32 v68, 0, v122
	v_add3_u32 v97, 0, v13, v122
	s_delay_alu instid0(VALU_DEP_2) | instskip(NEXT) | instid1(VALU_DEP_2)
	v_mad_u32_u24 v12, 0x88, v96, v68
	v_add_nc_u32_e32 v116, 0xc00, v97
	v_add_nc_u32_e32 v104, v68, v13
	;; [unrolled: 1-line block ×6, first 2 shown]
	v_add_f64 v[69:70], v[16:17], v[69:70]
	s_delay_alu instid0(VALU_DEP_1) | instskip(NEXT) | instid1(VALU_DEP_1)
	v_add_f64 v[69:70], v[8:9], v[69:70]
	v_add_f64 v[69:70], v[4:5], v[69:70]
	s_delay_alu instid0(VALU_DEP_1)
	v_add_f64 v[69:70], v[0:1], v[69:70]
	ds_store_2addr_b64 v12, v[91:92], v[93:94] offset0:4 offset1:5
	ds_store_2addr_b64 v12, v[108:109], v[120:121] offset0:6 offset1:7
	;; [unrolled: 1-line block ×6, first 2 shown]
	ds_store_b64 v12, v[106:107] offset:128
	ds_store_2addr_b64 v12, v[69:70], v[87:88] offset1:1
	ds_store_2addr_b64 v12, v[79:80], v[81:82] offset0:2 offset1:3
	s_waitcnt lgkmcnt(0)
	s_barrier
	buffer_gl0_inv
	ds_load_2addr_b64 v[76:79], v116 offset0:92 offset1:194
	ds_load_b64 v[112:113], v104
	ds_load_b64 v[108:109], v97 offset:8432
	ds_load_2addr_b64 v[84:87], v97 offset0:68 offset1:136
	ds_load_2addr_b64 v[80:83], v13 offset0:134 offset1:202
	;; [unrolled: 1-line block ×6, first 2 shown]
                                        ; implicit-def: $vgpr110_vgpr111
	s_and_saveexec_b32 s1, s0
	s_cbranch_execz .LBB0_14
; %bb.13:
	ds_load_b64 v[106:107], v97 offset:4352
	ds_load_b64 v[110:111], v97 offset:8976
.LBB0_14:
	s_or_b32 exec_lo, exec_lo, s1
	v_add_f64 v[114:115], v[46:47], v[14:15]
	v_add_f64 v[0:1], v[44:45], -v[0:1]
	v_add_f64 v[4:5], v[48:49], -v[4:5]
	;; [unrolled: 1-line block ×3, first 2 shown]
	v_add_f64 v[46:47], v[2:3], v[46:47]
	v_add_f64 v[48:49], v[6:7], v[50:51]
	;; [unrolled: 1-line block ×3, first 2 shown]
	v_add_f64 v[20:21], v[60:61], -v[20:21]
	v_add_f64 v[28:29], v[40:41], -v[28:29]
	;; [unrolled: 1-line block ×4, first 2 shown]
	v_add_f64 v[56:57], v[30:31], v[42:43]
	v_add_f64 v[16:17], v[64:65], -v[16:17]
	v_add_f64 v[64:65], v[34:35], v[38:39]
	s_waitcnt lgkmcnt(0)
	s_barrier
	buffer_gl0_inv
	v_add_f64 v[114:115], v[50:51], v[114:115]
	v_add_f64 v[50:51], v[10:11], v[54:55]
	v_mul_f64 v[60:61], v[0:1], s[44:45]
	v_mul_f64 v[40:41], v[0:1], s[48:49]
	;; [unrolled: 1-line block ×32, first 2 shown]
	v_add_f64 v[114:115], v[54:55], v[114:115]
	v_add_f64 v[54:55], v[22:23], v[62:63]
	v_fma_f64 v[165:166], v[46:47], s[22:23], -v[60:61]
	v_fma_f64 v[60:61], v[46:47], s[22:23], v[60:61]
	v_fma_f64 v[167:168], v[46:47], s[20:21], v[40:41]
	v_fma_f64 v[175:176], v[46:47], s[16:17], -v[36:37]
	v_fma_f64 v[177:178], v[46:47], s[18:19], -v[117:118]
	v_fma_f64 v[117:118], v[46:47], s[18:19], v[117:118]
	v_fma_f64 v[36:37], v[46:47], s[16:17], v[36:37]
	v_fma_f64 v[40:41], v[46:47], s[20:21], -v[40:41]
	v_fma_f64 v[187:188], v[48:49], s[20:21], -v[119:120]
	v_fma_f64 v[119:120], v[48:49], s[20:21], v[119:120]
	v_fma_f64 v[189:190], v[48:49], s[6:7], -v[123:124]
	v_fma_f64 v[123:124], v[48:49], s[6:7], v[123:124]
	;; [unrolled: 2-line block ×14, first 2 shown]
	v_add_f64 v[114:115], v[66:67], v[114:115]
	v_mul_f64 v[66:67], v[0:1], s[24:25]
	v_add_f64 v[60:61], v[14:15], v[60:61]
	v_add_f64 v[117:118], v[14:15], v[117:118]
	;; [unrolled: 1-line block ×5, first 2 shown]
	v_mul_f64 v[62:63], v[0:1], s[42:43]
	v_fma_f64 v[171:172], v[46:47], s[8:9], -v[66:67]
	v_fma_f64 v[66:67], v[46:47], s[8:9], v[66:67]
	v_add_f64 v[50:51], v[119:120], v[60:61]
	v_add_f64 v[36:37], v[131:132], v[36:37]
	;; [unrolled: 1-line block ×3, first 2 shown]
	v_fma_f64 v[189:190], v[52:53], s[20:21], -v[16:17]
	v_fma_f64 v[16:17], v[52:53], s[20:21], v[16:17]
	v_mul_f64 v[131:132], v[28:29], s[36:37]
	v_add_f64 v[44:45], v[58:59], v[114:115]
	v_mul_f64 v[114:115], v[0:1], s[30:31]
	v_mul_f64 v[0:1], v[0:1], s[52:53]
	v_fma_f64 v[169:170], v[46:47], s[6:7], -v[62:63]
	v_fma_f64 v[62:63], v[46:47], s[6:7], v[62:63]
	v_add_f64 v[66:67], v[14:15], v[66:67]
	v_add_f64 v[50:51], v[133:134], v[50:51]
	;; [unrolled: 1-line block ×3, first 2 shown]
	v_mul_f64 v[133:134], v[28:29], s[46:47]
	v_add_f64 v[40:41], v[207:208], v[40:41]
	v_add_f64 v[42:43], v[42:43], v[44:45]
	v_mul_f64 v[44:45], v[4:5], s[54:55]
	v_mul_f64 v[4:5], v[4:5], s[40:41]
	v_fma_f64 v[173:174], v[46:47], s[12:13], -v[114:115]
	v_fma_f64 v[114:115], v[46:47], s[12:13], v[114:115]
	v_fma_f64 v[179:180], v[46:47], s[14:15], v[0:1]
	v_fma_f64 v[0:1], v[46:47], s[14:15], -v[0:1]
	v_add_f64 v[62:63], v[14:15], v[62:63]
	v_mul_f64 v[46:47], v[20:21], s[52:53]
	v_add_f64 v[38:39], v[38:39], v[42:43]
	v_fma_f64 v[195:196], v[48:49], s[16:17], -v[44:45]
	v_fma_f64 v[44:45], v[48:49], s[16:17], v[44:45]
	v_fma_f64 v[201:202], v[48:49], s[22:23], -v[4:5]
	v_fma_f64 v[4:5], v[48:49], s[22:23], v[4:5]
	v_add_f64 v[48:49], v[14:15], v[165:166]
	v_add_f64 v[165:166], v[14:15], v[167:168]
	;; [unrolled: 1-line block ×11, first 2 shown]
	v_mul_f64 v[42:43], v[20:21], s[34:35]
	v_mul_f64 v[14:15], v[20:21], s[30:31]
	;; [unrolled: 1-line block ×4, first 2 shown]
	v_add_f64 v[34:35], v[34:35], v[38:39]
	v_mul_f64 v[38:39], v[24:25], s[50:51]
	v_add_f64 v[44:45], v[44:45], v[66:67]
	v_add_f64 v[4:5], v[4:5], v[117:118]
	;; [unrolled: 1-line block ×12, first 2 shown]
	v_fma_f64 v[167:168], v[52:53], s[6:7], -v[147:148]
	v_fma_f64 v[147:148], v[52:53], s[6:7], v[147:148]
	v_fma_f64 v[169:170], v[52:53], s[18:19], -v[149:150]
	v_fma_f64 v[149:150], v[52:53], s[18:19], v[149:150]
	;; [unrolled: 2-line block ×7, first 2 shown]
	v_add_f64 v[62:63], v[139:140], v[62:63]
	v_mul_f64 v[117:118], v[24:25], s[48:49]
	v_mul_f64 v[125:126], v[24:25], s[38:39]
	v_fma_f64 v[139:140], v[54:55], s[8:9], -v[161:162]
	v_fma_f64 v[191:192], v[54:55], s[6:7], -v[183:184]
	v_fma_f64 v[183:184], v[54:55], s[6:7], v[183:184]
	v_fma_f64 v[193:194], v[54:55], s[22:23], -v[185:186]
	v_fma_f64 v[185:186], v[54:55], s[22:23], v[185:186]
	v_fma_f64 v[195:196], v[54:55], s[12:13], -v[14:15]
	v_add_f64 v[30:31], v[30:31], v[34:35]
	v_mul_f64 v[34:35], v[24:25], s[26:27]
	v_mul_f64 v[24:25], v[24:25], s[28:29]
	v_fma_f64 v[14:15], v[54:55], s[12:13], v[14:15]
	v_add_f64 v[4:5], v[8:9], v[4:5]
	v_add_f64 v[48:49], v[205:206], v[48:49]
	;; [unrolled: 1-line block ×13, first 2 shown]
	v_fma_f64 v[141:142], v[54:55], s[8:9], v[161:162]
	v_fma_f64 v[143:144], v[54:55], s[16:17], -v[163:164]
	v_fma_f64 v[145:146], v[54:55], s[16:17], v[163:164]
	v_fma_f64 v[161:162], v[54:55], s[20:21], -v[42:43]
	;; [unrolled: 2-line block ×4, first 2 shown]
	v_fma_f64 v[181:182], v[54:55], s[18:19], v[181:182]
	v_add_f64 v[50:51], v[147:148], v[50:51]
	v_add_f64 v[40:41], v[169:170], v[40:41]
	v_mul_f64 v[135:136], v[28:29], s[44:45]
	v_mul_f64 v[66:67], v[28:29], s[42:43]
	v_fma_f64 v[169:170], v[58:59], s[20:21], -v[117:118]
	v_fma_f64 v[117:118], v[58:59], s[20:21], v[117:118]
	v_mul_f64 v[137:138], v[28:29], s[38:39]
	v_mul_f64 v[147:148], v[32:33], s[36:37]
	v_add_f64 v[26:27], v[26:27], v[30:31]
	v_mul_f64 v[30:31], v[28:29], s[28:29]
	v_add_f64 v[4:5], v[16:17], v[4:5]
	v_add_f64 v[48:49], v[167:168], v[48:49]
	;; [unrolled: 1-line block ×14, first 2 shown]
	v_fma_f64 v[149:150], v[58:59], s[12:13], -v[20:21]
	v_fma_f64 v[20:21], v[58:59], s[12:13], v[20:21]
	v_fma_f64 v[151:152], v[58:59], s[8:9], -v[38:39]
	v_fma_f64 v[38:39], v[58:59], s[8:9], v[38:39]
	;; [unrolled: 2-line block ×7, first 2 shown]
	v_add_f64 v[50:51], v[141:142], v[50:51]
	v_mul_f64 v[44:45], v[32:33], s[38:39]
	v_mul_f64 v[129:130], v[32:33], s[40:41]
	v_fma_f64 v[141:142], v[56:57], s[6:7], -v[66:67]
	v_fma_f64 v[66:67], v[56:57], s[6:7], v[66:67]
	v_add_f64 v[22:23], v[22:23], v[26:27]
	v_mul_f64 v[26:27], v[28:29], s[34:35]
	v_mul_f64 v[28:29], v[28:29], s[24:25]
	v_add_f64 v[4:5], v[14:15], v[4:5]
	v_add_f64 v[48:49], v[139:140], v[48:49]
	;; [unrolled: 1-line block ×15, first 2 shown]
	v_mul_f64 v[40:41], v[32:33], s[30:31]
	v_fma_f64 v[127:128], v[56:57], s[16:17], -v[131:132]
	v_fma_f64 v[131:132], v[56:57], s[16:17], v[131:132]
	v_fma_f64 v[139:140], v[56:57], s[14:15], -v[30:31]
	v_fma_f64 v[30:31], v[56:57], s[14:15], v[30:31]
	v_fma_f64 v[143:144], v[56:57], s[12:13], -v[133:134]
	v_fma_f64 v[145:146], v[56:57], s[22:23], -v[135:136]
	v_mul_f64 v[42:43], v[32:33], s[28:29]
	v_mul_f64 v[123:124], v[32:33], s[24:25]
	v_fma_f64 v[133:134], v[56:57], s[12:13], v[133:134]
	v_fma_f64 v[135:136], v[56:57], s[22:23], v[135:136]
	v_fma_f64 v[161:162], v[56:57], s[18:19], -v[137:138]
	v_fma_f64 v[137:138], v[56:57], s[18:19], v[137:138]
	v_add_f64 v[20:21], v[20:21], v[50:51]
	v_add_f64 v[18:19], v[18:19], v[22:23]
	v_mul_f64 v[22:23], v[32:33], s[34:35]
	v_fma_f64 v[163:164], v[56:57], s[20:21], -v[26:27]
	v_fma_f64 v[26:27], v[56:57], s[20:21], v[26:27]
	v_fma_f64 v[165:166], v[56:57], s[8:9], -v[28:29]
	v_fma_f64 v[28:29], v[56:57], s[8:9], v[28:29]
	v_add_f64 v[38:39], v[38:39], v[52:53]
	v_add_f64 v[50:51], v[157:158], v[54:55]
	v_mul_f64 v[32:33], v[32:33], s[26:27]
	v_add_f64 v[52:53], v[167:168], v[58:59]
	v_add_f64 v[54:55], v[169:170], v[60:61]
	;; [unrolled: 1-line block ×13, first 2 shown]
	v_fma_f64 v[34:35], v[64:65], s[18:19], v[44:45]
	v_fma_f64 v[125:126], v[64:65], s[12:13], -v[40:41]
	v_fma_f64 v[36:37], v[64:65], s[22:23], -v[129:130]
	;; [unrolled: 1-line block ×3, first 2 shown]
	v_fma_f64 v[117:118], v[64:65], s[16:17], v[147:148]
	v_fma_f64 v[147:148], v[64:65], s[8:9], -v[123:124]
	v_fma_f64 v[123:124], v[64:65], s[8:9], v[123:124]
	v_fma_f64 v[40:41], v[64:65], s[12:13], v[40:41]
	v_add_f64 v[20:21], v[131:132], v[20:21]
	v_add_f64 v[10:11], v[10:11], v[18:19]
	v_fma_f64 v[119:120], v[64:65], s[20:21], -v[22:23]
	v_fma_f64 v[18:19], v[64:65], s[18:19], -v[44:45]
	v_fma_f64 v[44:45], v[64:65], s[22:23], v[129:130]
	v_fma_f64 v[129:130], v[64:65], s[14:15], -v[42:43]
	v_fma_f64 v[42:43], v[64:65], s[14:15], v[42:43]
	v_add_f64 v[30:31], v[30:31], v[38:39]
	v_add_f64 v[38:39], v[143:144], v[50:51]
	v_fma_f64 v[149:150], v[64:65], s[6:7], -v[32:33]
	v_add_f64 v[50:51], v[145:146], v[52:53]
	v_add_f64 v[52:53], v[161:162], v[54:55]
	;; [unrolled: 1-line block ×4, first 2 shown]
	v_fma_f64 v[32:33], v[64:65], s[6:7], v[32:33]
	v_add_f64 v[58:59], v[165:166], v[60:61]
	v_add_f64 v[4:5], v[28:29], v[4:5]
	;; [unrolled: 1-line block ×4, first 2 shown]
	v_fma_f64 v[22:23], v[64:65], s[20:21], v[22:23]
	v_add_f64 v[46:47], v[133:134], v[46:47]
	v_add_f64 v[14:15], v[135:136], v[14:15]
	;; [unrolled: 1-line block ×22, first 2 shown]
                                        ; implicit-def: $vgpr118_vgpr119
	v_add_f64 v[2:3], v[2:3], v[6:7]
	ds_store_2addr_b64 v12, v[20:21], v[26:27] offset0:4 offset1:5
	ds_store_2addr_b64 v12, v[28:29], v[34:35] offset0:6 offset1:7
	ds_store_2addr_b64 v12, v[38:39], v[4:5] offset0:8 offset1:9
	ds_store_2addr_b64 v12, v[8:9], v[30:31] offset0:10 offset1:11
	ds_store_2addr_b64 v12, v[14:15], v[22:23] offset0:12 offset1:13
	ds_store_2addr_b64 v12, v[16:17], v[18:19] offset0:14 offset1:15
	ds_store_b64 v12, v[114:115] offset:128
	ds_store_2addr_b64 v12, v[2:3], v[10:11] offset1:1
	ds_store_2addr_b64 v12, v[24:25], v[0:1] offset0:2 offset1:3
	s_waitcnt lgkmcnt(0)
	s_barrier
	buffer_gl0_inv
	ds_load_2addr_b64 v[0:3], v116 offset0:92 offset1:194
	ds_load_2addr_b64 v[4:7], v97 offset0:68 offset1:136
	;; [unrolled: 1-line block ×7, first 2 shown]
	ds_load_b64 v[116:117], v104
	ds_load_b64 v[120:121], v97 offset:8432
	s_and_saveexec_b32 s1, s0
	s_cbranch_execz .LBB0_16
; %bb.15:
	ds_load_b64 v[114:115], v97 offset:4352
	ds_load_b64 v[118:119], v97 offset:8976
.LBB0_16:
	s_or_b32 exec_lo, exec_lo, s1
	v_add_nc_u16 v28, v96, 0x44
	v_add_nc_u16 v29, v96, 0x88
	v_and_b32_e32 v30, 0xff, v96
	v_add_nc_u32_e32 v36, 0xcc, v96
	v_add_nc_u32_e32 v102, 0x110, v96
	v_and_b32_e32 v31, 0xff, v28
	v_and_b32_e32 v32, 0xff, v29
	v_mul_lo_u16 v30, 0xf1, v30
	v_add_nc_u32_e32 v103, 0x154, v96
	v_add_nc_u32_e32 v105, 0x198, v96
	v_mul_lo_u16 v31, 0xf1, v31
	v_mul_lo_u16 v32, 0xf1, v32
	v_add_nc_u32_e32 v64, 0x1dc, v96
	v_lshrrev_b16 v141, 12, v30
	v_and_b32_e32 v30, 0xffff, v36
	v_lshrrev_b16 v142, 12, v31
	v_lshrrev_b16 v149, 12, v32
	v_and_b32_e32 v31, 0xffff, v102
	v_and_b32_e32 v34, 0xffff, v103
	;; [unrolled: 1-line block ×3, first 2 shown]
	v_mul_lo_u16 v33, v142, 17
	v_mul_lo_u16 v37, v149, 17
	v_mul_u32_u24_e32 v38, 0xf0f1, v30
	v_mul_u32_u24_e32 v39, 0xf0f1, v34
	v_mul_lo_u16 v32, v141, 17
	v_sub_nc_u16 v28, v28, v33
	v_and_b32_e32 v33, 0xffff, v64
	v_sub_nc_u16 v29, v29, v37
	v_mul_u32_u24_e32 v37, 0xf0f1, v31
	v_mul_u32_u24_e32 v40, 0xf0f1, v35
	v_lshrrev_b32_e32 v153, 20, v38
	v_mul_u32_u24_e32 v41, 0xf0f1, v33
	v_lshrrev_b32_e32 v155, 20, v39
	v_lshrrev_b32_e32 v154, 20, v37
	v_sub_nc_u16 v32, v96, v32
	v_lshrrev_b32_e32 v156, 20, v40
	v_lshrrev_b32_e32 v157, 20, v41
	v_mul_lo_u16 v37, v153, 17
	v_mul_lo_u16 v38, v154, 17
	;; [unrolled: 1-line block ×3, first 2 shown]
	v_and_b32_e32 v150, 0xff, v32
	v_mul_lo_u16 v40, v156, 17
	v_mul_lo_u16 v41, v157, 17
	v_and_b32_e32 v151, 0xff, v28
	v_sub_nc_u16 v36, v36, v37
	v_sub_nc_u16 v37, v102, v38
	;; [unrolled: 1-line block ×3, first 2 shown]
	v_lshlrev_b32_e32 v28, 4, v150
	v_sub_nc_u16 v39, v105, v40
	v_sub_nc_u16 v40, v64, v41
	v_and_b32_e32 v152, 0xff, v29
	v_lshlrev_b32_e32 v32, 4, v151
	v_add_nc_u32_e32 v65, 0x220, v96
	v_and_b32_e32 v158, 0xffff, v36
	v_and_b32_e32 v159, 0xffff, v37
	;; [unrolled: 1-line block ×3, first 2 shown]
	s_clause 0x1
	global_load_b128 v[28:31], v28, s[4:5]
	global_load_b128 v[32:35], v32, s[4:5]
	v_and_b32_e32 v161, 0xffff, v39
	v_and_b32_e32 v162, 0xffff, v40
	v_lshlrev_b32_e32 v42, 4, v152
	v_lshlrev_b32_e32 v40, 4, v158
	v_and_b32_e32 v60, 0xffff, v65
	v_lshlrev_b32_e32 v44, 4, v159
	v_lshlrev_b32_e32 v48, 4, v160
	;; [unrolled: 1-line block ×4, first 2 shown]
	s_clause 0x5
	global_load_b128 v[36:39], v42, s[4:5]
	global_load_b128 v[40:43], v40, s[4:5]
	;; [unrolled: 1-line block ×6, first 2 shown]
	v_mul_u32_u24_e32 v60, 0xf0f1, v60
	v_and_b32_e32 v166, 0xffff, v142
	s_delay_alu instid0(VALU_DEP_2) | instskip(NEXT) | instid1(VALU_DEP_1)
	v_lshrrev_b32_e32 v163, 20, v60
	v_mul_lo_u16 v60, v163, 17
	s_delay_alu instid0(VALU_DEP_1) | instskip(NEXT) | instid1(VALU_DEP_1)
	v_sub_nc_u16 v60, v65, v60
	v_and_b32_e32 v164, 0xffff, v60
	s_delay_alu instid0(VALU_DEP_1)
	v_lshlrev_b32_e32 v60, 4, v164
	global_load_b128 v[60:63], v60, s[4:5]
	s_waitcnt vmcnt(0) lgkmcnt(0)
	s_barrier
	buffer_gl0_inv
	v_mul_f64 v[66:67], v[2:3], v[30:31]
	v_mul_f64 v[123:124], v[16:17], v[34:35]
	;; [unrolled: 1-line block ×8, first 2 shown]
	v_fma_f64 v[66:67], v[78:79], v[28:29], v[66:67]
	v_fma_f64 v[123:124], v[80:81], v[32:33], v[123:124]
	v_mul_f64 v[137:138], v[118:119], v[62:63]
	v_fma_f64 v[125:126], v[82:83], v[36:37], v[125:126]
	v_fma_f64 v[127:128], v[72:73], v[40:41], v[127:128]
	;; [unrolled: 1-line block ×6, first 2 shown]
	v_add_f64 v[139:140], v[112:113], -v[66:67]
	v_add_f64 v[123:124], v[84:85], -v[123:124]
	v_fma_f64 v[66:67], v[110:111], v[60:61], v[137:138]
	v_and_b32_e32 v137, 0xffff, v141
	v_add_f64 v[125:126], v[86:87], -v[125:126]
	v_add_f64 v[127:128], v[88:89], -v[127:128]
	;; [unrolled: 1-line block ×6, first 2 shown]
	v_mad_u32_u24 v165, 0x110, v137, 0
	v_fma_f64 v[112:113], v[112:113], 2.0, -v[139:140]
	v_fma_f64 v[137:138], v[84:85], 2.0, -v[123:124]
	v_lshlrev_b32_e32 v84, 3, v150
	v_mad_u32_u24 v85, 0x110, v166, 0
	v_add_f64 v[66:67], v[106:107], -v[66:67]
	v_lshlrev_b32_e32 v150, 3, v152
	v_fma_f64 v[141:142], v[86:87], 2.0, -v[125:126]
	v_fma_f64 v[143:144], v[88:89], 2.0, -v[127:128]
	;; [unrolled: 1-line block ×6, first 2 shown]
	v_and_b32_e32 v77, 0xffff, v149
	v_mad_u32_u24 v87, 0x110, v153, 0
	v_mad_u32_u24 v88, 0x110, v154, 0
	;; [unrolled: 1-line block ×6, first 2 shown]
	v_lshlrev_b32_e32 v149, 3, v151
	v_lshlrev_b32_e32 v151, 3, v158
	v_lshlrev_b32_e32 v152, 3, v159
	v_lshlrev_b32_e32 v153, 3, v160
	v_lshlrev_b32_e32 v154, 3, v161
	v_lshlrev_b32_e32 v155, 3, v162
	v_mul_lo_u16 v76, v163, 34
	v_add3_u32 v84, v165, v84, v122
	v_lshl_add_u32 v77, v164, 3, 0
	v_add3_u32 v85, v85, v149, v122
	v_add3_u32 v86, v86, v150, v122
	;; [unrolled: 1-line block ×7, first 2 shown]
	ds_store_2addr_b64 v84, v[112:113], v[139:140] offset1:17
	ds_store_2addr_b64 v85, v[137:138], v[123:124] offset1:17
	ds_store_2addr_b64 v86, v[141:142], v[125:126] offset1:17
	ds_store_2addr_b64 v87, v[143:144], v[127:128] offset1:17
	ds_store_2addr_b64 v88, v[145:146], v[129:130] offset1:17
	ds_store_2addr_b64 v89, v[92:93], v[131:132] offset1:17
	ds_store_2addr_b64 v90, v[94:95], v[133:134] offset1:17
	ds_store_2addr_b64 v91, v[147:148], v[135:136] offset1:17
	s_and_saveexec_b32 s1, s0
	s_cbranch_execz .LBB0_18
; %bb.17:
	v_fma_f64 v[92:93], v[106:107], 2.0, -v[66:67]
	v_and_b32_e32 v94, 0xffff, v76
	s_delay_alu instid0(VALU_DEP_1) | instskip(NEXT) | instid1(VALU_DEP_1)
	v_lshlrev_b32_e32 v94, 3, v94
	v_add3_u32 v94, v77, v94, v122
	ds_store_2addr_b64 v94, v[92:93], v[66:67] offset1:17
.LBB0_18:
	s_or_b32 exec_lo, exec_lo, s1
	v_mul_f64 v[30:31], v[78:79], v[30:31]
	v_mul_f64 v[34:35], v[80:81], v[34:35]
	;; [unrolled: 1-line block ×8, first 2 shown]
	v_add_nc_u32_e32 v68, 0xc00, v97
	v_add_nc_u32_e32 v69, 0x1000, v97
	s_waitcnt lgkmcnt(0)
	s_barrier
	buffer_gl0_inv
	v_fma_f64 v[2:3], v[2:3], v[28:29], -v[30:31]
	v_mul_f64 v[30:31], v[110:111], v[62:63]
	v_fma_f64 v[16:17], v[16:17], v[32:33], -v[34:35]
	v_fma_f64 v[18:19], v[18:19], v[36:37], -v[38:39]
	;; [unrolled: 1-line block ×7, first 2 shown]
	v_add_nc_u32_e32 v62, 0x400, v97
	v_add_nc_u32_e32 v63, 0x800, v97
	;; [unrolled: 1-line block ×4, first 2 shown]
	v_add_f64 v[34:35], v[116:117], -v[2:3]
	v_fma_f64 v[2:3], v[118:119], v[60:61], -v[30:31]
	v_add_f64 v[36:37], v[4:5], -v[16:17]
	v_add_f64 v[38:39], v[6:7], -v[18:19]
	;; [unrolled: 1-line block ×7, first 2 shown]
	ds_load_b64 v[59:60], v104
	ds_load_2addr_b64 v[28:31], v97 offset0:68 offset1:136
	v_add_nc_u32_e32 v118, 0x1800, v97
	v_fma_f64 v[50:51], v[116:117], 2.0, -v[34:35]
	v_add_f64 v[56:57], v[114:115], -v[2:3]
	v_fma_f64 v[52:53], v[4:5], 2.0, -v[36:37]
	v_fma_f64 v[54:55], v[6:7], 2.0, -v[38:39]
	;; [unrolled: 1-line block ×7, first 2 shown]
	ds_load_2addr_b64 v[24:27], v62 offset0:76 offset1:144
	ds_load_2addr_b64 v[20:23], v63 offset0:84 offset1:152
	;; [unrolled: 1-line block ×7, first 2 shown]
	s_waitcnt lgkmcnt(0)
	s_barrier
	buffer_gl0_inv
	ds_store_2addr_b64 v84, v[50:51], v[34:35] offset1:17
	ds_store_2addr_b64 v85, v[52:53], v[36:37] offset1:17
	;; [unrolled: 1-line block ×8, first 2 shown]
	s_and_saveexec_b32 s1, s0
	s_cbranch_execz .LBB0_20
; %bb.19:
	v_fma_f64 v[34:35], v[114:115], 2.0, -v[56:57]
	v_and_b32_e32 v36, 0xffff, v76
	s_delay_alu instid0(VALU_DEP_1) | instskip(NEXT) | instid1(VALU_DEP_1)
	v_lshlrev_b32_e32 v36, 3, v36
	v_add3_u32 v36, v77, v36, v122
	ds_store_2addr_b64 v36, v[34:35], v[56:57] offset1:17
.LBB0_20:
	s_or_b32 exec_lo, exec_lo, s1
	v_subrev_nc_u32_e32 v58, 34, v96
	s_waitcnt lgkmcnt(0)
	s_barrier
	buffer_gl0_inv
	s_mov_b32 s6, 0x5d8e7cdc
	v_cndmask_b32_e64 v116, v58, v96, s0
	v_mov_b32_e32 v35, 0
	s_mov_b32 s8, 0x2a9d6da3
	s_mov_b32 s12, 0x7c9e640b
	;; [unrolled: 1-line block ×3, first 2 shown]
	v_lshlrev_b32_e32 v34, 4, v116
	s_mov_b32 s9, 0xbfe58eea
	s_mov_b32 s13, 0xbfeca52d
	;; [unrolled: 1-line block ×4, first 2 shown]
	v_lshlrev_b64 v[34:35], 4, v[34:35]
	s_mov_b32 s15, 0xbfefdd0d
	s_mov_b32 s17, 0xbfeec746
	;; [unrolled: 1-line block ×5, first 2 shown]
	v_add_co_u32 v42, s1, s4, v34
	s_delay_alu instid0(VALU_DEP_1)
	v_add_co_ci_u32_e64 v43, s1, s5, v35, s1
	s_mov_b32 s29, 0xbfe0d888
	s_mov_b32 s34, 0xacd6c6b4
	;; [unrolled: 1-line block ×3, first 2 shown]
	s_clause 0xf
	global_load_b128 v[34:37], v[42:43], off offset:272
	global_load_b128 v[38:41], v[42:43], off offset:288
	;; [unrolled: 1-line block ×16, first 2 shown]
	ds_load_2addr_b64 v[110:113], v97 offset0:68 offset1:136
	ds_load_2addr_b64 v[155:158], v62 offset0:76 offset1:144
	;; [unrolled: 1-line block ×8, first 2 shown]
	s_mov_b32 s26, 0x370991
	s_mov_b32 s18, 0x75d4884
	;; [unrolled: 1-line block ×32, first 2 shown]
	v_cmp_lt_u32_e64 s1, 33, v96
	s_waitcnt vmcnt(15) lgkmcnt(7)
	v_mul_f64 v[42:43], v[110:111], v[36:37]
	s_waitcnt vmcnt(14)
	v_mul_f64 v[46:47], v[112:113], v[40:41]
	s_waitcnt vmcnt(12) lgkmcnt(6)
	v_mul_f64 v[52:53], v[157:158], v[78:79]
	s_waitcnt vmcnt(10)
	v_mul_f64 v[32:33], v[18:19], v[90:91]
	s_waitcnt vmcnt(8)
	;; [unrolled: 2-line block ×3, first 2 shown]
	v_mul_f64 v[119:120], v[0:1], v[129:130]
	s_waitcnt vmcnt(3) lgkmcnt(2)
	v_mul_f64 v[183:184], v[171:172], v[141:142]
	v_mul_f64 v[141:142], v[8:9], v[141:142]
	s_waitcnt vmcnt(2)
	v_mul_f64 v[185:186], v[169:170], v[145:146]
	s_waitcnt vmcnt(0)
	v_mul_f64 v[187:188], v[167:168], v[153:154]
	v_mul_f64 v[153:154], v[4:5], v[153:154]
	;; [unrolled: 1-line block ×3, first 2 shown]
	v_fma_f64 v[44:45], v[28:29], v[34:35], v[42:43]
	v_mul_f64 v[42:43], v[155:156], v[72:73]
	v_fma_f64 v[46:47], v[30:31], v[38:39], v[46:47]
	v_fma_f64 v[52:53], v[26:27], v[76:77], v[52:53]
	v_mul_f64 v[28:29], v[28:29], v[36:37]
	v_mul_f64 v[30:31], v[30:31], v[40:41]
	;; [unrolled: 1-line block ×6, first 2 shown]
	s_waitcnt lgkmcnt(0)
	v_mul_f64 v[94:95], v[179:180], v[94:95]
	v_add_f64 v[48:49], v[59:60], v[44:45]
	v_fma_f64 v[50:51], v[24:25], v[70:71], v[42:43]
	v_mul_f64 v[24:25], v[24:25], v[72:73]
	v_mul_f64 v[72:73], v[163:164], v[129:130]
	v_fma_f64 v[114:115], v[110:111], v[34:35], -v[28:29]
	v_fma_f64 v[28:29], v[181:182], v[88:89], -v[32:33]
	v_fma_f64 v[80:81], v[22:23], v[106:107], v[40:41]
	v_mul_f64 v[129:130], v[175:176], v[133:134]
	v_mul_f64 v[133:134], v[173:174], v[137:138]
	v_fma_f64 v[112:113], v[112:113], v[38:39], -v[30:31]
	v_fma_f64 v[30:31], v[179:180], v[92:93], -v[36:37]
	v_mul_f64 v[137:138], v[10:11], v[137:138]
	v_fma_f64 v[38:39], v[171:172], v[139:140], -v[141:142]
	v_fma_f64 v[34:35], v[175:176], v[131:132], -v[78:79]
	v_fma_f64 v[78:79], v[6:7], v[143:144], v[185:186]
	v_fma_f64 v[40:41], v[169:170], v[143:144], -v[145:146]
	v_add_f64 v[42:43], v[48:49], v[46:47]
	v_mul_f64 v[48:49], v[159:160], v[84:85]
	v_fma_f64 v[110:111], v[155:156], v[70:71], -v[24:25]
	v_fma_f64 v[36:37], v[173:174], v[135:136], -v[137:138]
	s_delay_alu instid0(VALU_DEP_4) | instskip(NEXT) | instid1(VALU_DEP_4)
	v_add_f64 v[42:43], v[42:43], v[50:51]
	v_fma_f64 v[74:75], v[20:21], v[82:83], v[48:49]
	v_mul_f64 v[20:21], v[20:21], v[84:85]
	v_mul_f64 v[84:85], v[181:182], v[90:91]
	;; [unrolled: 1-line block ×5, first 2 shown]
	v_fma_f64 v[90:91], v[157:158], v[76:77], -v[26:27]
	v_fma_f64 v[76:77], v[0:1], v[127:128], v[72:73]
	v_add_f64 v[0:1], v[114:115], -v[28:29]
	v_fma_f64 v[72:73], v[4:5], v[151:152], v[187:188]
	v_mul_f64 v[149:150], v[2:3], v[149:150]
	v_add_f64 v[42:43], v[42:43], v[52:53]
	v_fma_f64 v[86:87], v[159:160], v[82:83], -v[20:21]
	v_fma_f64 v[108:109], v[18:19], v[88:89], v[84:85]
	v_fma_f64 v[32:33], v[177:178], v[123:124], -v[48:49]
	v_fma_f64 v[82:83], v[161:162], v[106:107], -v[54:55]
	v_fma_f64 v[106:107], v[16:17], v[92:93], v[94:95]
	v_fma_f64 v[94:95], v[14:15], v[123:124], v[125:126]
	;; [unrolled: 1-line block ×3, first 2 shown]
	v_fma_f64 v[54:55], v[163:164], v[127:128], -v[119:120]
	v_fma_f64 v[70:71], v[2:3], v[147:148], v[181:182]
	v_add_f64 v[2:3], v[112:113], -v[30:31]
	v_mul_f64 v[119:120], v[0:1], s[6:7]
	v_mul_f64 v[123:124], v[0:1], s[8:9]
	;; [unrolled: 1-line block ×3, first 2 shown]
	v_fma_f64 v[92:93], v[12:13], v[131:132], v[129:130]
	v_mul_f64 v[129:130], v[0:1], s[14:15]
	v_mul_f64 v[133:134], v[0:1], s[16:17]
	v_fma_f64 v[84:85], v[8:9], v[139:140], v[183:184]
	v_mul_f64 v[135:136], v[0:1], s[24:25]
	v_mul_f64 v[139:140], v[0:1], s[28:29]
	v_mul_f64 v[0:1], v[0:1], s[34:35]
	v_fma_f64 v[48:49], v[165:166], v[147:148], -v[149:150]
	v_add_f64 v[8:9], v[90:91], -v[34:35]
	v_add_f64 v[26:27], v[76:77], v[78:79]
	v_add_f64 v[22:23], v[42:43], v[74:75]
	v_fma_f64 v[42:43], v[167:168], v[151:152], -v[153:154]
	v_add_f64 v[20:21], v[86:87], -v[36:37]
	v_add_f64 v[10:11], v[44:45], v[108:109]
	v_add_f64 v[6:7], v[110:111], -v[32:33]
	v_add_f64 v[24:25], v[82:83], -v[38:39]
	v_add_f64 v[12:13], v[46:47], v[106:107]
	v_add_f64 v[14:15], v[50:51], v[94:95]
	;; [unrolled: 1-line block ×3, first 2 shown]
	v_add_f64 v[125:126], v[54:55], -v[40:41]
	v_add_f64 v[131:132], v[70:71], v[72:73]
	v_mul_f64 v[141:142], v[2:3], s[8:9]
	v_mul_f64 v[143:144], v[2:3], s[14:15]
	;; [unrolled: 1-line block ×8, first 2 shown]
	v_add_f64 v[16:17], v[52:53], v[92:93]
	v_mul_f64 v[169:170], v[8:9], s[14:15]
	v_mul_f64 v[171:172], v[8:9], s[34:35]
	;; [unrolled: 1-line block ×8, first 2 shown]
	v_add_f64 v[4:5], v[22:23], v[80:81]
	v_add_f64 v[22:23], v[80:81], v[84:85]
	v_mul_f64 v[183:184], v[20:21], s[16:17]
	v_fma_f64 v[187:188], v[10:11], s[26:27], v[119:120]
	v_fma_f64 v[189:190], v[10:11], s[18:19], v[123:124]
	v_fma_f64 v[123:124], v[10:11], s[18:19], -v[123:124]
	v_fma_f64 v[191:192], v[10:11], s[20:21], v[127:128]
	v_fma_f64 v[193:194], v[10:11], s[22:23], v[129:130]
	v_fma_f64 v[129:130], v[10:11], s[22:23], -v[129:130]
	;; [unrolled: 3-line block ×4, first 2 shown]
	v_fma_f64 v[139:140], v[10:11], s[46:47], -v[139:140]
	v_fma_f64 v[133:134], v[10:11], s[30:31], -v[133:134]
	;; [unrolled: 1-line block ×4, first 2 shown]
	v_mul_f64 v[155:156], v[6:7], s[12:13]
	v_mul_f64 v[157:158], v[6:7], s[24:25]
	;; [unrolled: 1-line block ×8, first 2 shown]
	v_fma_f64 v[211:212], v[12:13], s[18:19], v[141:142]
	v_fma_f64 v[141:142], v[12:13], s[18:19], -v[141:142]
	v_fma_f64 v[213:214], v[12:13], s[22:23], v[143:144]
	v_fma_f64 v[143:144], v[12:13], s[22:23], -v[143:144]
	;; [unrolled: 2-line block ×5, first 2 shown]
	v_fma_f64 v[221:222], v[12:13], s[30:31], v[151:152]
	v_add_f64 v[4:5], v[4:5], v[76:77]
	v_fma_f64 v[151:152], v[12:13], s[30:31], -v[151:152]
	v_fma_f64 v[223:224], v[12:13], s[20:21], v[153:154]
	v_fma_f64 v[153:154], v[12:13], s[20:21], -v[153:154]
	v_fma_f64 v[225:226], v[12:13], s[26:27], v[2:3]
	v_fma_f64 v[2:3], v[12:13], s[26:27], -v[2:3]
	v_add_f64 v[12:13], v[59:60], v[187:188]
	v_add_f64 v[187:188], v[59:60], v[189:190]
	;; [unrolled: 1-line block ×16, first 2 shown]
	v_fma_f64 v[231:232], v[14:15], s[20:21], v[155:156]
	v_fma_f64 v[155:156], v[14:15], s[20:21], -v[155:156]
	v_fma_f64 v[233:234], v[14:15], s[36:37], v[157:158]
	v_fma_f64 v[157:158], v[14:15], s[36:37], -v[157:158]
	;; [unrolled: 2-line block ×8, first 2 shown]
	v_add_f64 v[4:5], v[4:5], v[70:71]
	v_mul_f64 v[185:186], v[20:21], s[38:39]
	v_mul_f64 v[119:120], v[20:21], s[50:51]
	;; [unrolled: 1-line block ×5, first 2 shown]
	v_add_f64 v[12:13], v[211:212], v[12:13]
	v_add_f64 v[14:15], v[213:214], v[187:188]
	;; [unrolled: 1-line block ×16, first 2 shown]
	v_mul_f64 v[209:210], v[20:21], s[6:7]
	v_mul_f64 v[20:21], v[20:21], s[24:25]
	v_fma_f64 v[153:154], v[16:17], s[22:23], v[169:170]
	v_fma_f64 v[169:170], v[16:17], s[22:23], -v[169:170]
	v_fma_f64 v[193:194], v[16:17], s[52:53], v[171:172]
	v_fma_f64 v[171:172], v[16:17], s[52:53], -v[171:172]
	;; [unrolled: 2-line block ×7, first 2 shown]
	v_add_f64 v[4:5], v[4:5], v[72:73]
	v_fma_f64 v[215:216], v[16:17], s[18:19], v[8:9]
	v_fma_f64 v[8:9], v[16:17], s[18:19], -v[8:9]
	v_mul_f64 v[201:202], v[24:25], s[40:41]
	v_mul_f64 v[227:228], v[24:25], s[6:7]
	v_fma_f64 v[217:218], v[18:19], s[52:53], v[205:206]
	v_add_f64 v[12:13], v[231:232], v[12:13]
	v_add_f64 v[14:15], v[233:234], v[14:15]
	;; [unrolled: 1-line block ×16, first 2 shown]
	v_fma_f64 v[167:168], v[18:19], s[30:31], v[183:184]
	v_fma_f64 v[183:184], v[18:19], s[30:31], -v[183:184]
	v_fma_f64 v[187:188], v[18:19], s[46:47], v[185:186]
	v_fma_f64 v[185:186], v[18:19], s[46:47], -v[185:186]
	;; [unrolled: 2-line block ×4, first 2 shown]
	v_fma_f64 v[205:206], v[18:19], s[52:53], -v[205:206]
	v_fma_f64 v[219:220], v[18:19], s[22:23], v[207:208]
	v_fma_f64 v[207:208], v[18:19], s[22:23], -v[207:208]
	v_fma_f64 v[221:222], v[18:19], s[26:27], v[209:210]
	;; [unrolled: 2-line block ×3, first 2 shown]
	v_fma_f64 v[18:19], v[18:19], s[36:37], -v[20:21]
	v_mul_f64 v[59:60], v[24:25], s[24:25]
	v_add_f64 v[4:5], v[4:5], v[78:79]
	v_mul_f64 v[229:230], v[24:25], s[28:29]
	v_mul_f64 v[139:140], v[24:25], s[56:57]
	v_mul_f64 v[141:142], v[24:25], s[8:9]
	v_mul_f64 v[145:146], v[24:25], s[34:35]
	v_mul_f64 v[24:25], v[24:25], s[42:43]
	v_add_f64 v[12:13], v[153:154], v[12:13]
	v_add_f64 v[14:15], v[193:194], v[14:15]
	;; [unrolled: 1-line block ×16, first 2 shown]
	v_add_f64 v[137:138], v[48:49], -v[42:43]
	v_mul_f64 v[133:134], v[125:126], s[42:43]
	v_mul_f64 v[155:156], v[125:126], s[14:15]
	v_fma_f64 v[173:174], v[22:23], s[30:31], v[201:202]
	v_fma_f64 v[177:178], v[22:23], s[26:27], v[227:228]
	v_mul_f64 v[149:150], v[125:126], s[28:29]
	v_mul_f64 v[159:160], v[125:126], s[54:55]
	;; [unrolled: 1-line block ×6, first 2 shown]
	v_fma_f64 v[175:176], v[22:23], s[30:31], -v[201:202]
	v_fma_f64 v[179:180], v[22:23], s[26:27], -v[227:228]
	v_fma_f64 v[171:172], v[22:23], s[36:37], v[59:60]
	v_add_f64 v[4:5], v[4:5], v[84:85]
	v_fma_f64 v[59:60], v[22:23], s[36:37], -v[59:60]
	v_fma_f64 v[181:182], v[22:23], s[46:47], v[229:230]
	v_fma_f64 v[193:194], v[22:23], s[46:47], -v[229:230]
	v_fma_f64 v[195:196], v[22:23], s[22:23], v[139:140]
	;; [unrolled: 2-line block ×3, first 2 shown]
	v_add_f64 v[14:15], v[187:188], v[14:15]
	v_fma_f64 v[141:142], v[22:23], s[18:19], -v[141:142]
	v_add_f64 v[20:21], v[189:190], v[20:21]
	v_fma_f64 v[199:200], v[22:23], s[52:53], v[145:146]
	v_fma_f64 v[145:146], v[22:23], s[52:53], -v[145:146]
	v_fma_f64 v[201:202], v[22:23], s[20:21], v[24:25]
	v_fma_f64 v[22:23], v[22:23], s[20:21], -v[24:25]
	v_add_f64 v[12:13], v[167:168], v[12:13]
	v_add_f64 v[24:25], v[191:192], v[123:124]
	;; [unrolled: 1-line block ×14, first 2 shown]
	v_mul_f64 v[161:162], v[137:138], s[44:45]
	v_mul_f64 v[169:170], v[137:138], s[28:29]
	v_fma_f64 v[185:186], v[26:27], s[20:21], v[133:134]
	v_fma_f64 v[187:188], v[26:27], s[22:23], v[155:156]
	v_mul_f64 v[157:158], v[137:138], s[34:35]
	v_mul_f64 v[18:19], v[137:138], s[50:51]
	;; [unrolled: 1-line block ×3, first 2 shown]
	v_fma_f64 v[183:184], v[26:27], s[46:47], v[149:150]
	v_fma_f64 v[149:150], v[26:27], s[46:47], -v[149:150]
	v_fma_f64 v[133:134], v[26:27], s[20:21], -v[133:134]
	v_add_f64 v[4:5], v[4:5], v[88:89]
	v_fma_f64 v[155:156], v[26:27], s[22:23], -v[155:156]
	v_fma_f64 v[189:190], v[26:27], s[36:37], v[159:160]
	v_fma_f64 v[159:160], v[26:27], s[36:37], -v[159:160]
	v_fma_f64 v[191:192], v[26:27], s[26:27], v[163:164]
	;; [unrolled: 2-line block ×3, first 2 shown]
	v_add_f64 v[14:15], v[173:174], v[14:15]
	v_fma_f64 v[165:166], v[26:27], s[52:53], -v[165:166]
	v_add_f64 v[20:21], v[177:178], v[20:21]
	v_fma_f64 v[205:206], v[26:27], s[18:19], v[127:128]
	v_fma_f64 v[127:128], v[26:27], s[18:19], -v[127:128]
	v_fma_f64 v[207:208], v[26:27], s[30:31], v[125:126]
	v_fma_f64 v[26:27], v[26:27], s[30:31], -v[125:126]
	v_add_f64 v[12:13], v[171:172], v[12:13]
	v_add_f64 v[24:25], v[181:182], v[24:25]
	v_mul_f64 v[153:154], v[137:138], s[42:43]
	v_add_f64 v[125:126], v[195:196], v[129:130]
	v_mul_f64 v[167:168], v[137:138], s[16:17]
	v_add_f64 v[16:17], v[175:176], v[16:17]
	v_add_f64 v[129:130], v[197:198], v[143:144]
	;; [unrolled: 1-line block ×4, first 2 shown]
	v_mul_f64 v[137:138], v[137:138], s[56:57]
	v_add_f64 v[143:144], v[201:202], v[151:152]
	v_add_f64 v[0:1], v[22:23], v[0:1]
	;; [unrolled: 1-line block ×7, first 2 shown]
	v_fma_f64 v[139:140], v[131:132], s[26:27], v[161:162]
	v_fma_f64 v[147:148], v[131:132], s[46:47], v[169:170]
	;; [unrolled: 1-line block ×3, first 2 shown]
	v_fma_f64 v[59:60], v[131:132], s[52:53], -v[157:158]
	v_fma_f64 v[145:146], v[131:132], s[26:27], -v[161:162]
	v_fma_f64 v[157:158], v[131:132], s[18:19], v[18:19]
	v_fma_f64 v[161:162], v[131:132], s[36:37], v[119:120]
	v_add_f64 v[4:5], v[4:5], v[92:93]
	v_fma_f64 v[151:152], v[131:132], s[46:47], -v[169:170]
	v_fma_f64 v[18:19], v[131:132], s[18:19], -v[18:19]
	;; [unrolled: 1-line block ×3, first 2 shown]
	v_add_f64 v[14:15], v[185:186], v[14:15]
	v_add_f64 v[20:21], v[187:188], v[20:21]
	v_add_f64 v[12:13], v[183:184], v[12:13]
	v_add_f64 v[24:25], v[189:190], v[24:25]
	v_fma_f64 v[169:170], v[131:132], s[20:21], v[153:154]
	v_add_f64 v[125:126], v[191:192], v[125:126]
	v_fma_f64 v[171:172], v[131:132], s[30:31], v[167:168]
	v_add_f64 v[16:17], v[133:134], v[16:17]
	v_add_f64 v[129:130], v[203:204], v[129:130]
	;; [unrolled: 1-line block ×4, first 2 shown]
	v_fma_f64 v[153:154], v[131:132], s[20:21], -v[153:154]
	v_fma_f64 v[167:168], v[131:132], s[30:31], -v[167:168]
	v_fma_f64 v[173:174], v[131:132], s[22:23], v[137:138]
	v_fma_f64 v[131:132], v[131:132], s[22:23], -v[137:138]
	v_add_f64 v[137:138], v[207:208], v[143:144]
	v_add_f64 v[0:1], v[26:27], v[0:1]
	;; [unrolled: 1-line block ×24, first 2 shown]
	v_cndmask_b32_e64 v10, 0, 0x1210, s1
	v_lshlrev_b32_e32 v11, 3, v116
	ds_load_b64 v[116:117], v104
	v_add_f64 v[4:5], v[4:5], v[106:107]
	s_waitcnt lgkmcnt(0)
	v_add_nc_u32_e32 v10, 0, v10
	s_barrier
	buffer_gl0_inv
	v_add3_u32 v59, v10, v11, v122
	s_delay_alu instid0(VALU_DEP_1)
	v_add_nc_u32_e32 v10, 0x800, v59
	v_add_f64 v[4:5], v[4:5], v[108:109]
	ds_store_2addr_b64 v59, v[14:15], v[20:21] offset0:68 offset1:102
	ds_store_2addr_b64 v59, v[22:23], v[24:25] offset0:136 offset1:170
	;; [unrolled: 1-line block ×7, first 2 shown]
	ds_store_b64 v59, v[60:61] offset:4352
	ds_store_2addr_b64 v59, v[4:5], v[12:13] offset1:34
	s_waitcnt lgkmcnt(0)
	s_barrier
	buffer_gl0_inv
	ds_load_2addr_b64 v[12:15], v68 offset0:92 offset1:194
	ds_load_2addr_b64 v[8:11], v97 offset0:68 offset1:136
	;; [unrolled: 1-line block ×7, first 2 shown]
	ds_load_b64 v[62:63], v104
	ds_load_b64 v[68:69], v97 offset:8432
	s_and_saveexec_b32 s1, s0
	s_cbranch_execz .LBB0_22
; %bb.21:
	ds_load_b64 v[60:61], v97 offset:4352
	ds_load_b64 v[66:67], v97 offset:8976
.LBB0_22:
	s_or_b32 exec_lo, exec_lo, s1
	v_add_f64 v[118:119], v[116:117], v[114:115]
	v_add_f64 v[114:115], v[114:115], v[28:29]
	v_add_f64 v[44:45], v[44:45], -v[108:109]
	v_add_f64 v[52:53], v[52:53], -v[92:93]
	v_add_f64 v[74:75], v[74:75], -v[88:89]
	v_add_f64 v[76:77], v[76:77], -v[78:79]
	v_add_f64 v[50:51], v[50:51], -v[94:95]
	v_add_f64 v[70:71], v[70:71], -v[72:73]
	v_add_f64 v[80:81], v[80:81], -v[84:85]
	v_add_f64 v[84:85], v[54:55], v[40:41]
	v_add_f64 v[46:47], v[46:47], -v[106:107]
	v_add_f64 v[106:107], v[48:49], v[42:43]
	s_waitcnt lgkmcnt(0)
	s_barrier
	buffer_gl0_inv
	v_add_f64 v[118:119], v[118:119], v[112:113]
	v_add_f64 v[112:113], v[112:113], v[30:31]
	v_mul_f64 v[88:89], v[114:115], s[26:27]
	v_mul_f64 v[92:93], v[114:115], s[18:19]
	;; [unrolled: 1-line block ×8, first 2 shown]
	v_add_f64 v[118:119], v[118:119], v[110:111]
	v_add_f64 v[110:111], v[110:111], v[32:33]
	v_mul_f64 v[122:123], v[112:113], s[18:19]
	v_mul_f64 v[124:125], v[112:113], s[22:23]
	;; [unrolled: 1-line block ×6, first 2 shown]
	v_fma_f64 v[166:167], v[44:45], s[44:45], v[88:89]
	v_fma_f64 v[168:169], v[44:45], s[50:51], v[92:93]
	;; [unrolled: 1-line block ×16, first 2 shown]
	v_add_f64 v[118:119], v[118:119], v[90:91]
	v_add_f64 v[90:91], v[90:91], v[34:35]
	v_mul_f64 v[134:135], v[110:111], s[20:21]
	v_mul_f64 v[136:137], v[110:111], s[36:37]
	;; [unrolled: 1-line block ×8, first 2 shown]
	v_fma_f64 v[188:189], v[46:47], s[50:51], v[122:123]
	v_fma_f64 v[122:123], v[46:47], s[8:9], v[122:123]
	;; [unrolled: 1-line block ×12, first 2 shown]
	v_add_f64 v[92:93], v[116:117], v[92:93]
	v_add_f64 v[94:95], v[116:117], v[94:95]
	;; [unrolled: 1-line block ×10, first 2 shown]
	v_mul_f64 v[148:149], v[90:91], s[22:23]
	v_mul_f64 v[150:151], v[90:91], s[52:53]
	;; [unrolled: 1-line block ×8, first 2 shown]
	v_fma_f64 v[206:207], v[50:51], s[42:43], v[134:135]
	v_fma_f64 v[134:135], v[50:51], s[12:13], v[134:135]
	;; [unrolled: 1-line block ×16, first 2 shown]
	v_add_f64 v[92:93], v[124:125], v[92:93]
	v_add_f64 v[94:95], v[128:129], v[94:95]
	;; [unrolled: 1-line block ×6, first 2 shown]
	v_mul_f64 v[126:127], v[84:85], s[46:47]
	v_add_f64 v[118:119], v[118:119], v[82:83]
	v_add_f64 v[82:83], v[82:83], v[38:39]
	v_mul_f64 v[162:163], v[86:87], s[30:31]
	v_mul_f64 v[164:165], v[86:87], s[46:47]
	;; [unrolled: 1-line block ×6, first 2 shown]
	v_fma_f64 v[130:131], v[52:53], s[56:57], v[148:149]
	v_fma_f64 v[132:133], v[52:53], s[14:15], v[148:149]
	v_fma_f64 v[148:149], v[52:53], s[48:49], v[150:151]
	v_fma_f64 v[150:151], v[52:53], s[34:35], v[150:151]
	v_add_f64 v[92:93], v[136:137], v[92:93]
	v_add_f64 v[94:95], v[140:141], v[94:95]
	;; [unrolled: 1-line block ×4, first 2 shown]
	v_mul_f64 v[134:135], v[84:85], s[36:37]
	v_mul_f64 v[138:139], v[84:85], s[26:27]
	v_add_f64 v[54:55], v[118:119], v[54:55]
	v_mul_f64 v[118:119], v[112:113], s[30:31]
	v_mul_f64 v[112:113], v[112:113], s[26:27]
	;; [unrolled: 1-line block ×4, first 2 shown]
	v_add_f64 v[92:93], v[150:151], v[92:93]
	v_add_f64 v[44:45], v[132:133], v[44:45]
	v_mul_f64 v[132:133], v[106:107], s[26:27]
	v_add_f64 v[48:49], v[54:55], v[48:49]
	v_fma_f64 v[198:199], v[46:47], s[16:17], v[118:119]
	v_fma_f64 v[118:119], v[46:47], s[40:41], v[118:119]
	;; [unrolled: 1-line block ×4, first 2 shown]
	v_add_f64 v[112:113], v[116:117], v[166:167]
	v_add_f64 v[166:167], v[116:117], v[168:169]
	;; [unrolled: 1-line block ×8, first 2 shown]
	v_mul_f64 v[54:55], v[86:87], s[18:19]
	v_mul_f64 v[116:117], v[82:83], s[30:31]
	;; [unrolled: 1-line block ×3, first 2 shown]
	v_add_f64 v[42:43], v[48:49], v[42:43]
	v_mul_f64 v[48:49], v[86:87], s[36:37]
	v_add_f64 v[118:119], v[118:119], v[120:121]
	v_mul_f64 v[86:87], v[82:83], s[36:37]
	v_add_f64 v[46:47], v[46:47], v[114:115]
	v_add_f64 v[110:111], v[188:189], v[112:113]
	v_add_f64 v[112:113], v[190:191], v[166:167]
	v_add_f64 v[124:125], v[192:193], v[168:169]
	v_add_f64 v[166:167], v[194:195], v[170:171]
	v_add_f64 v[128:129], v[196:197], v[172:173]
	v_add_f64 v[168:169], v[198:199], v[174:175]
	v_add_f64 v[120:121], v[200:201], v[176:177]
	v_add_f64 v[170:171], v[202:203], v[178:179]
	v_fma_f64 v[172:173], v[52:53], s[16:17], v[152:153]
	v_fma_f64 v[152:153], v[52:53], s[40:41], v[152:153]
	;; [unrolled: 1-line block ×12, first 2 shown]
	v_mul_f64 v[114:115], v[82:83], s[18:19]
	v_fma_f64 v[192:193], v[74:75], s[14:15], v[184:185]
	v_fma_f64 v[184:185], v[74:75], s[56:57], v[184:185]
	;; [unrolled: 1-line block ×5, first 2 shown]
	v_add_f64 v[40:41], v[42:43], v[40:41]
	v_mul_f64 v[42:43], v[82:83], s[22:23]
	v_add_f64 v[118:119], v[144:145], v[118:119]
	v_mul_f64 v[82:83], v[82:83], s[20:21]
	v_add_f64 v[46:47], v[50:51], v[46:47]
	v_add_f64 v[90:91], v[206:207], v[110:111]
	;; [unrolled: 1-line block ×11, first 2 shown]
	v_fma_f64 v[144:145], v[74:75], s[40:41], v[162:163]
	v_fma_f64 v[146:147], v[74:75], s[16:17], v[162:163]
	;; [unrolled: 1-line block ×12, first 2 shown]
	v_add_f64 v[94:95], v[154:155], v[94:95]
	v_mul_f64 v[108:109], v[84:85], s[22:23]
	v_mul_f64 v[142:143], v[84:85], s[52:53]
	v_fma_f64 v[154:155], v[80:81], s[38:39], v[204:205]
	v_add_f64 v[38:39], v[40:41], v[38:39]
	v_mul_f64 v[40:41], v[84:85], s[20:21]
	v_add_f64 v[118:119], v[158:159], v[118:119]
	v_fma_f64 v[158:159], v[80:81], s[14:15], v[42:43]
	v_add_f64 v[46:47], v[52:53], v[46:47]
	v_add_f64 v[74:75], v[130:131], v[90:91]
	;; [unrolled: 1-line block ×12, first 2 shown]
	v_mul_f64 v[78:79], v[84:85], s[30:31]
	v_fma_f64 v[140:141], v[80:81], s[54:55], v[86:87]
	v_fma_f64 v[86:87], v[80:81], s[24:25], v[86:87]
	;; [unrolled: 1-line block ×13, first 2 shown]
	v_add_f64 v[88:89], v[88:89], v[94:95]
	v_add_f64 v[44:45], v[146:147], v[44:45]
	v_mul_f64 v[136:137], v[106:107], s[46:47]
	v_fma_f64 v[146:147], v[76:77], s[56:57], v[108:109]
	v_fma_f64 v[108:109], v[76:77], s[14:15], v[108:109]
	v_add_f64 v[36:37], v[38:39], v[36:37]
	v_mul_f64 v[38:39], v[84:85], s[18:19]
	v_add_f64 v[118:119], v[184:185], v[118:119]
	v_mul_f64 v[84:85], v[106:107], s[52:53]
	v_add_f64 v[46:47], v[48:49], v[46:47]
	v_add_f64 v[74:75], v[144:145], v[74:75]
	;; [unrolled: 1-line block ×13, first 2 shown]
	v_fma_f64 v[130:131], v[76:77], s[38:39], v[126:127]
	v_fma_f64 v[126:127], v[76:77], s[28:29], v[126:127]
	;; [unrolled: 1-line block ×11, first 2 shown]
	v_mul_f64 v[54:55], v[106:107], s[36:37]
	v_mul_f64 v[72:73], v[106:107], s[20:21]
	v_mul_f64 v[128:129], v[106:107], s[30:31]
	v_add_f64 v[88:89], v[156:157], v[88:89]
	v_add_f64 v[44:45], v[86:87], v[44:45]
	v_fma_f64 v[86:87], v[70:71], s[38:39], v[136:137]
	v_add_f64 v[34:35], v[36:37], v[34:35]
	v_fma_f64 v[168:169], v[76:77], s[8:9], v[38:39]
	v_fma_f64 v[38:39], v[76:77], s[50:51], v[38:39]
	;; [unrolled: 1-line block ×3, first 2 shown]
	v_mul_f64 v[36:37], v[106:107], s[18:19]
	v_add_f64 v[74:75], v[140:141], v[74:75]
	v_add_f64 v[78:79], v[148:149], v[82:83]
	;; [unrolled: 1-line block ×9, first 2 shown]
	v_mul_f64 v[106:107], v[106:107], s[22:23]
	v_add_f64 v[116:117], v[174:175], v[124:125]
	v_add_f64 v[46:47], v[80:81], v[46:47]
	v_add_f64 v[48:49], v[122:123], v[48:49]
	v_add_f64 v[42:43], v[42:43], v[50:51]
	v_add_f64 v[50:51], v[152:153], v[52:53]
	v_fma_f64 v[80:81], v[70:71], s[6:7], v[132:133]
	v_fma_f64 v[52:53], v[70:71], s[34:35], v[84:85]
	;; [unrolled: 1-line block ×7, first 2 shown]
	v_add_f64 v[88:89], v[134:135], v[88:89]
	v_add_f64 v[44:45], v[126:127], v[44:45]
	v_add_f64 v[32:33], v[34:35], v[32:33]
	v_fma_f64 v[34:35], v[70:71], s[48:49], v[84:85]
	v_fma_f64 v[84:85], v[70:71], s[44:45], v[132:133]
	;; [unrolled: 1-line block ×4, first 2 shown]
	v_add_f64 v[74:75], v[130:131], v[74:75]
	v_add_f64 v[78:79], v[144:145], v[78:79]
	;; [unrolled: 1-line block ×7, first 2 shown]
	v_fma_f64 v[36:37], v[70:71], s[50:51], v[36:37]
	v_add_f64 v[110:111], v[168:169], v[114:115]
	v_fma_f64 v[128:129], v[70:71], s[16:17], v[128:129]
	v_fma_f64 v[136:137], v[70:71], s[14:15], v[106:107]
	;; [unrolled: 1-line block ×3, first 2 shown]
	v_add_f64 v[106:107], v[142:143], v[112:113]
	v_add_f64 v[112:113], v[170:171], v[116:117]
	;; [unrolled: 1-line block ×23, first 2 shown]
	v_add_nc_u32_e32 v44, 0x1000, v97
	v_add_nc_u32_e32 v45, 0x400, v97
	;; [unrolled: 1-line block ×4, first 2 shown]
	v_add_f64 v[28:29], v[30:31], v[28:29]
	v_add_nc_u32_e32 v31, 0xc00, v97
	v_add_nc_u32_e32 v30, 0x800, v59
	ds_store_2addr_b64 v59, v[34:35], v[50:51] offset0:68 offset1:102
	ds_store_2addr_b64 v59, v[74:75], v[76:77] offset0:136 offset1:170
	;; [unrolled: 1-line block ×7, first 2 shown]
	ds_store_b64 v59, v[70:71] offset:4352
	ds_store_2addr_b64 v59, v[28:29], v[32:33] offset1:34
	s_waitcnt lgkmcnt(0)
	s_barrier
	buffer_gl0_inv
	ds_load_2addr_b64 v[40:43], v31 offset0:92 offset1:194
	ds_load_2addr_b64 v[36:39], v97 offset0:68 offset1:136
	;; [unrolled: 1-line block ×7, first 2 shown]
	ds_load_b64 v[72:73], v104
	ds_load_b64 v[74:75], v97 offset:8432
	s_and_saveexec_b32 s1, s0
	s_cbranch_execz .LBB0_24
; %bb.23:
	ds_load_b64 v[70:71], v97 offset:4352
	ds_load_b64 v[56:57], v97 offset:8976
	v_mov_b32_e32 v58, v65
.LBB0_24:
	s_or_b32 exec_lo, exec_lo, s1
	s_and_saveexec_b32 s0, vcc_lo
	s_cbranch_execz .LBB0_27
; %bb.25:
	v_mov_b32_e32 v65, 0
	v_add_nc_u32_e32 v119, 0x154, v96
	v_add_nc_u32_e32 v121, 0x1dc, v96
	;; [unrolled: 1-line block ×4, first 2 shown]
	v_mov_b32_e32 v106, v65
	v_lshlrev_b64 v[76:77], 4, v[64:65]
	v_mov_b32_e32 v104, v65
	v_mov_b32_e32 v97, v65
	v_mul_hi_u32 v126, 0xe2c4a689, v119
	v_lshlrev_b64 v[78:79], 4, v[105:106]
	v_mul_hi_u32 v125, 0xe2c4a689, v118
	v_add_co_u32 v59, vcc_lo, s4, v76
	v_add_co_ci_u32_e32 v64, vcc_lo, s5, v77, vcc_lo
	s_delay_alu instid0(VALU_DEP_4) | instskip(SKIP_1) | instid1(VALU_DEP_4)
	v_add_co_u32 v78, vcc_lo, s4, v78
	v_add_co_ci_u32_e32 v79, vcc_lo, s5, v79, vcc_lo
	v_add_co_u32 v76, vcc_lo, 0x2000, v59
	v_lshlrev_b64 v[88:89], 4, v[103:104]
	v_add_co_ci_u32_e32 v77, vcc_lo, 0, v64, vcc_lo
	v_add_co_u32 v78, vcc_lo, 0x2000, v78
	v_mov_b32_e32 v103, v65
	v_add_co_ci_u32_e32 v79, vcc_lo, 0, v79, vcc_lo
	v_add_co_u32 v59, vcc_lo, s4, v88
	s_clause 0x1
	global_load_b128 v[80:83], v[76:77], off offset:784
	global_load_b128 v[84:87], v[78:79], off offset:784
	v_add_co_ci_u32_e32 v64, vcc_lo, s5, v89, vcc_lo
	v_lshlrev_b64 v[76:77], 4, v[102:103]
	v_add_co_u32 v78, vcc_lo, 0x2000, v59
	v_lshlrev_b64 v[88:89], 4, v[96:97]
	s_delay_alu instid0(VALU_DEP_4) | instskip(NEXT) | instid1(VALU_DEP_4)
	v_add_co_ci_u32_e32 v79, vcc_lo, 0, v64, vcc_lo
	v_add_co_u32 v59, vcc_lo, s4, v76
	v_add_co_ci_u32_e32 v64, vcc_lo, s5, v77, vcc_lo
	s_delay_alu instid0(VALU_DEP_4) | instskip(SKIP_1) | instid1(VALU_DEP_4)
	v_add_co_u32 v88, vcc_lo, s4, v88
	v_add_co_ci_u32_e32 v89, vcc_lo, s5, v89, vcc_lo
	v_add_co_u32 v76, vcc_lo, 0x2000, v59
	s_delay_alu instid0(VALU_DEP_4) | instskip(NEXT) | instid1(VALU_DEP_4)
	v_add_co_ci_u32_e32 v77, vcc_lo, 0, v64, vcc_lo
	v_add_co_u32 v114, vcc_lo, 0x2000, v88
	s_delay_alu instid0(VALU_DEP_4)
	v_add_co_ci_u32_e32 v115, vcc_lo, 0, v89, vcc_lo
	s_clause 0x5
	global_load_b128 v[88:91], v[78:79], off offset:784
	global_load_b128 v[92:95], v[76:77], off offset:784
	;; [unrolled: 1-line block ×6, first 2 shown]
	v_mul_lo_u32 v59, s3, v100
	v_mul_lo_u32 v64, s2, v101
	v_mad_u64_u32 v[77:78], null, s2, v100, 0
	v_mul_hi_u32 v79, 0xe2c4a689, v96
	v_lshlrev_b64 v[97:98], 4, v[98:99]
	v_add_nc_u32_e32 v99, 0x44, v96
	v_add_nc_u32_e32 v100, 0x88, v96
	;; [unrolled: 1-line block ×3, first 2 shown]
	v_lshrrev_b32_e32 v141, 9, v125
	v_add3_u32 v78, v78, v64, v59
	v_mul_hi_u32 v59, 0xe2c4a689, v120
	v_mul_hi_u32 v64, 0xe2c4a689, v121
	;; [unrolled: 1-line block ×5, first 2 shown]
	v_lshrrev_b32_e32 v79, 9, v79
	v_lshrrev_b32_e32 v142, 9, v126
	v_lshlrev_b64 v[77:78], 4, v[77:78]
	v_lshrrev_b32_e32 v59, 9, v59
	v_lshrrev_b32_e32 v143, 9, v64
	v_mul_u32_u24_e32 v79, 0x242, v79
	v_lshrrev_b32_e32 v132, 9, v122
	v_lshrrev_b32_e32 v138, 9, v123
	;; [unrolled: 1-line block ×3, first 2 shown]
	v_mul_u32_u24_e32 v124, 0x242, v141
	v_mul_u32_u24_e32 v125, 0x242, v142
	v_mul_u32_u24_e32 v126, 0x242, v59
	v_mul_u32_u24_e32 v127, 0x242, v143
	v_sub_nc_u32_e32 v64, v96, v79
	v_mul_u32_u24_e32 v79, 0x242, v132
	v_mul_u32_u24_e32 v122, 0x242, v138
	v_sub_nc_u32_e32 v144, v118, v124
	v_sub_nc_u32_e32 v145, v119, v125
	v_sub_nc_u32_e32 v146, v120, v126
	v_sub_nc_u32_e32 v147, v121, v127
	v_mul_u32_u24_e32 v123, 0x242, v140
	v_lshlrev_b32_e32 v134, 4, v64
	v_sub_nc_u32_e32 v64, v99, v79
	v_sub_nc_u32_e32 v139, v100, v122
	v_add_co_u32 v77, s0, s10, v77
	v_sub_nc_u32_e32 v101, v101, v123
	v_add_co_ci_u32_e64 v133, s0, s11, v78, s0
	v_mad_u32_u24 v64, 0x484, v132, v64
	s_delay_alu instid0(VALU_DEP_4) | instskip(NEXT) | instid1(VALU_DEP_1)
	v_add_co_u32 v78, s0, v77, v97
	v_add_co_ci_u32_e64 v79, s0, v133, v98, s0
	s_delay_alu instid0(VALU_DEP_3) | instskip(SKIP_1) | instid1(VALU_DEP_4)
	v_lshlrev_b64 v[132:133], 4, v[64:65]
	v_add_nc_u32_e32 v64, 0x242, v64
	v_add_co_u32 v97, s0, v78, v134
	s_delay_alu instid0(VALU_DEP_1) | instskip(NEXT) | instid1(VALU_DEP_3)
	v_add_co_ci_u32_e64 v98, s0, 0, v79, s0
	v_lshlrev_b64 v[136:137], 4, v[64:65]
	v_mad_u32_u24 v64, 0x484, v138, v139
	s_delay_alu instid0(VALU_DEP_4) | instskip(NEXT) | instid1(VALU_DEP_1)
	v_add_co_u32 v134, s0, 0x2000, v97
	v_add_co_ci_u32_e64 v135, s0, 0, v98, s0
	s_delay_alu instid0(VALU_DEP_3) | instskip(SKIP_2) | instid1(VALU_DEP_1)
	v_lshlrev_b64 v[138:139], 4, v[64:65]
	v_add_nc_u32_e32 v64, 0x242, v64
	v_add_co_u32 v132, s0, v78, v132
	v_add_co_ci_u32_e64 v133, s0, v79, v133, s0
	v_add_nc_u32_e32 v76, 0x220, v96
	s_delay_alu instid0(VALU_DEP_1)
	v_cmp_gt_u32_e32 vcc_lo, 0x242, v76
	s_waitcnt vmcnt(7)
	v_mul_f64 v[99:100], v[68:69], v[82:83]
	s_waitcnt vmcnt(6)
	v_mul_f64 v[118:119], v[26:27], v[86:87]
	s_waitcnt lgkmcnt(2)
	v_mul_f64 v[86:87], v[54:55], v[86:87]
	s_waitcnt lgkmcnt(0)
	v_mul_f64 v[82:83], v[74:75], v[82:83]
	s_waitcnt vmcnt(5)
	v_mul_f64 v[120:121], v[24:25], v[90:91]
	v_mul_f64 v[90:91], v[52:53], v[90:91]
	s_waitcnt vmcnt(3)
	v_mul_f64 v[124:125], v[14:15], v[104:105]
	;; [unrolled: 3-line block ×5, first 2 shown]
	v_mul_f64 v[116:117], v[44:45], v[116:117]
	v_mul_f64 v[122:123], v[18:19], v[94:95]
	;; [unrolled: 1-line block ×3, first 2 shown]
	v_fma_f64 v[74:75], v[74:75], v[80:81], -v[99:100]
	v_fma_f64 v[54:55], v[54:55], v[84:85], -v[118:119]
	v_fma_f64 v[26:27], v[26:27], v[84:85], v[86:87]
	v_fma_f64 v[68:69], v[68:69], v[80:81], v[82:83]
	v_add_co_u32 v99, s0, v78, v136
	s_delay_alu instid0(VALU_DEP_1)
	v_add_co_ci_u32_e64 v100, s0, v79, v137, s0
	v_fma_f64 v[84:85], v[52:53], v[88:89], -v[120:121]
	v_fma_f64 v[88:89], v[24:25], v[88:89], v[90:91]
	v_fma_f64 v[24:25], v[42:43], v[102:103], -v[124:125]
	v_fma_f64 v[42:43], v[14:15], v[102:103], v[104:105]
	;; [unrolled: 2-line block ×6, first 2 shown]
	v_lshlrev_b64 v[14:15], 4, v[64:65]
	v_mad_u32_u24 v64, 0x484, v140, v101
	v_add_co_u32 v101, s0, v78, v138
	s_delay_alu instid0(VALU_DEP_1) | instskip(NEXT) | instid1(VALU_DEP_4)
	v_add_co_ci_u32_e64 v102, s0, v79, v139, s0
	v_add_co_u32 v103, s0, v78, v14
	s_delay_alu instid0(VALU_DEP_1)
	v_add_co_ci_u32_e64 v104, s0, v79, v15, s0
	v_add_f64 v[14:15], v[12:13], -v[68:69]
	v_lshlrev_b64 v[16:17], 4, v[64:65]
	v_add_nc_u32_e32 v64, 0x242, v64
	v_add_f64 v[20:21], v[30:31], -v[54:55]
	v_add_f64 v[18:19], v[2:3], -v[26:27]
	s_delay_alu instid0(VALU_DEP_4) | instskip(NEXT) | instid1(VALU_DEP_1)
	v_add_co_u32 v105, s0, v78, v16
	v_add_co_ci_u32_e64 v106, s0, v79, v17, s0
	v_add_f64 v[16:17], v[40:41], -v[74:75]
	v_lshlrev_b64 v[94:95], 4, v[64:65]
	v_mad_u32_u24 v64, 0x484, v141, v144
	v_add_f64 v[24:25], v[72:73], -v[24:25]
	v_add_f64 v[22:23], v[62:63], -v[42:43]
	;; [unrolled: 1-line block ×12, first 2 shown]
	v_lshlrev_b64 v[107:108], 4, v[64:65]
	v_add_nc_u32_e32 v64, 0x242, v64
	v_add_co_u32 v54, s0, v78, v94
	s_delay_alu instid0(VALU_DEP_1) | instskip(NEXT) | instid1(VALU_DEP_3)
	v_add_co_ci_u32_e64 v55, s0, v79, v95, s0
	v_lshlrev_b64 v[26:27], 4, v[64:65]
	v_mad_u32_u24 v64, 0x484, v142, v145
	v_add_co_u32 v68, s0, v78, v107
	s_delay_alu instid0(VALU_DEP_1) | instskip(NEXT) | instid1(VALU_DEP_3)
	v_add_co_ci_u32_e64 v69, s0, v79, v108, s0
	v_lshlrev_b64 v[74:75], 4, v[64:65]
	v_add_co_u32 v107, s0, v78, v26
	s_delay_alu instid0(VALU_DEP_1) | instskip(SKIP_1) | instid1(VALU_DEP_4)
	v_add_co_ci_u32_e64 v108, s0, v79, v27, s0
	v_fma_f64 v[88:89], v[12:13], 2.0, -v[14:15]
	v_add_co_u32 v111, s0, v78, v74
	s_delay_alu instid0(VALU_DEP_1)
	v_add_co_ci_u32_e64 v112, s0, v79, v75, s0
	v_add_nc_u32_e32 v64, 0x242, v64
	v_fma_f64 v[2:3], v[2:3], 2.0, -v[18:19]
	v_fma_f64 v[90:91], v[40:41], 2.0, -v[16:17]
	;; [unrolled: 1-line block ×12, first 2 shown]
	v_lshlrev_b64 v[109:110], 4, v[64:65]
	v_mad_u32_u24 v64, 0x484, v59, v146
	v_fma_f64 v[28:29], v[28:29], 2.0, -v[86:87]
	v_fma_f64 v[26:27], v[0:1], 2.0, -v[84:85]
	;; [unrolled: 1-line block ×3, first 2 shown]
	s_delay_alu instid0(VALU_DEP_4) | instskip(SKIP_2) | instid1(VALU_DEP_1)
	v_lshlrev_b64 v[113:114], 4, v[64:65]
	v_add_nc_u32_e32 v64, 0x242, v64
	v_add_co_u32 v0, s0, v78, v109
	v_add_co_ci_u32_e64 v1, s0, v79, v110, s0
	s_delay_alu instid0(VALU_DEP_3) | instskip(SKIP_2) | instid1(VALU_DEP_1)
	v_lshlrev_b64 v[30:31], 4, v[64:65]
	v_mad_u32_u24 v64, 0x484, v143, v147
	v_add_co_u32 v32, s0, v78, v113
	v_add_co_ci_u32_e64 v33, s0, v79, v114, s0
	s_delay_alu instid0(VALU_DEP_3) | instskip(SKIP_2) | instid1(VALU_DEP_1)
	v_lshlrev_b64 v[34:35], 4, v[64:65]
	v_add_nc_u32_e32 v64, 0x242, v64
	v_add_co_u32 v30, s0, v78, v30
	v_add_co_ci_u32_e64 v31, s0, v79, v31, s0
	s_delay_alu instid0(VALU_DEP_3) | instskip(SKIP_1) | instid1(VALU_DEP_1)
	v_lshlrev_b64 v[40:41], 4, v[64:65]
	v_add_co_u32 v34, s0, v78, v34
	v_add_co_ci_u32_e64 v35, s0, v79, v35, s0
	s_delay_alu instid0(VALU_DEP_3) | instskip(NEXT) | instid1(VALU_DEP_1)
	v_add_co_u32 v40, s0, v78, v40
	v_add_co_ci_u32_e64 v41, s0, v79, v41, s0
	s_clause 0xf
	global_store_b128 v[97:98], v[72:75], off
	global_store_b128 v[134:135], v[22:25], off offset:1056
	global_store_b128 v[132:133], v[92:95], off
	global_store_b128 v[99:100], v[42:45], off
	global_store_b128 v[101:102], v[10:13], off
	global_store_b128 v[103:104], v[46:49], off
	global_store_b128 v[105:106], v[36:39], off
	global_store_b128 v[54:55], v[50:53], off
	global_store_b128 v[68:69], v[6:9], off
	global_store_b128 v[107:108], v[80:83], off
	global_store_b128 v[111:112], v[26:29], off
	global_store_b128 v[0:1], v[84:87], off
	global_store_b128 v[32:33], v[2:5], off
	global_store_b128 v[30:31], v[18:21], off
	global_store_b128 v[34:35], v[88:91], off
	global_store_b128 v[40:41], v[14:17], off
	s_and_b32 exec_lo, exec_lo, vcc_lo
	s_cbranch_execz .LBB0_27
; %bb.26:
	v_dual_mov_b32 v59, v65 :: v_dual_add_nc_u32 v64, 0x462, v96
	v_mov_b32_e32 v77, v65
	s_delay_alu instid0(VALU_DEP_2) | instskip(NEXT) | instid1(VALU_DEP_3)
	v_lshlrev_b64 v[0:1], 4, v[58:59]
	v_lshlrev_b64 v[10:11], 4, v[64:65]
	s_delay_alu instid0(VALU_DEP_3) | instskip(NEXT) | instid1(VALU_DEP_3)
	v_lshlrev_b64 v[8:9], 4, v[76:77]
	v_add_co_u32 v0, vcc_lo, s4, v0
	s_delay_alu instid0(VALU_DEP_4) | instskip(NEXT) | instid1(VALU_DEP_2)
	v_add_co_ci_u32_e32 v1, vcc_lo, s5, v1, vcc_lo
	v_add_co_u32 v0, vcc_lo, 0x2000, v0
	s_delay_alu instid0(VALU_DEP_2)
	v_add_co_ci_u32_e32 v1, vcc_lo, 0, v1, vcc_lo
	v_add_co_u32 v8, vcc_lo, v78, v8
	v_add_co_ci_u32_e32 v9, vcc_lo, v79, v9, vcc_lo
	global_load_b128 v[0:3], v[0:1], off offset:784
	v_add_co_u32 v10, vcc_lo, v78, v10
	v_add_co_ci_u32_e32 v11, vcc_lo, v79, v11, vcc_lo
	s_waitcnt vmcnt(0)
	v_mul_f64 v[4:5], v[56:57], v[2:3]
	v_mul_f64 v[2:3], v[66:67], v[2:3]
	s_delay_alu instid0(VALU_DEP_2) | instskip(NEXT) | instid1(VALU_DEP_2)
	v_fma_f64 v[4:5], v[66:67], v[0:1], v[4:5]
	v_fma_f64 v[2:3], v[56:57], v[0:1], -v[2:3]
	s_delay_alu instid0(VALU_DEP_2) | instskip(NEXT) | instid1(VALU_DEP_2)
	v_add_f64 v[0:1], v[60:61], -v[4:5]
	v_add_f64 v[2:3], v[70:71], -v[2:3]
	s_delay_alu instid0(VALU_DEP_2) | instskip(NEXT) | instid1(VALU_DEP_2)
	v_fma_f64 v[4:5], v[60:61], 2.0, -v[0:1]
	v_fma_f64 v[6:7], v[70:71], 2.0, -v[2:3]
	s_clause 0x1
	global_store_b128 v[8:9], v[4:7], off
	global_store_b128 v[10:11], v[0:3], off
.LBB0_27:
	s_nop 0
	s_sendmsg sendmsg(MSG_DEALLOC_VGPRS)
	s_endpgm
	.section	.rodata,"a",@progbits
	.p2align	6, 0x0
	.amdhsa_kernel fft_rtc_back_len1156_factors_17_2_17_2_wgs_204_tpt_68_halfLds_dp_op_CI_CI_unitstride_sbrr_dirReg
		.amdhsa_group_segment_fixed_size 0
		.amdhsa_private_segment_fixed_size 0
		.amdhsa_kernarg_size 104
		.amdhsa_user_sgpr_count 15
		.amdhsa_user_sgpr_dispatch_ptr 0
		.amdhsa_user_sgpr_queue_ptr 0
		.amdhsa_user_sgpr_kernarg_segment_ptr 1
		.amdhsa_user_sgpr_dispatch_id 0
		.amdhsa_user_sgpr_private_segment_size 0
		.amdhsa_wavefront_size32 1
		.amdhsa_uses_dynamic_stack 0
		.amdhsa_enable_private_segment 0
		.amdhsa_system_sgpr_workgroup_id_x 1
		.amdhsa_system_sgpr_workgroup_id_y 0
		.amdhsa_system_sgpr_workgroup_id_z 0
		.amdhsa_system_sgpr_workgroup_info 0
		.amdhsa_system_vgpr_workitem_id 0
		.amdhsa_next_free_vgpr 247
		.amdhsa_next_free_sgpr 58
		.amdhsa_reserve_vcc 1
		.amdhsa_float_round_mode_32 0
		.amdhsa_float_round_mode_16_64 0
		.amdhsa_float_denorm_mode_32 3
		.amdhsa_float_denorm_mode_16_64 3
		.amdhsa_dx10_clamp 1
		.amdhsa_ieee_mode 1
		.amdhsa_fp16_overflow 0
		.amdhsa_workgroup_processor_mode 1
		.amdhsa_memory_ordered 1
		.amdhsa_forward_progress 0
		.amdhsa_shared_vgpr_count 0
		.amdhsa_exception_fp_ieee_invalid_op 0
		.amdhsa_exception_fp_denorm_src 0
		.amdhsa_exception_fp_ieee_div_zero 0
		.amdhsa_exception_fp_ieee_overflow 0
		.amdhsa_exception_fp_ieee_underflow 0
		.amdhsa_exception_fp_ieee_inexact 0
		.amdhsa_exception_int_div_zero 0
	.end_amdhsa_kernel
	.text
.Lfunc_end0:
	.size	fft_rtc_back_len1156_factors_17_2_17_2_wgs_204_tpt_68_halfLds_dp_op_CI_CI_unitstride_sbrr_dirReg, .Lfunc_end0-fft_rtc_back_len1156_factors_17_2_17_2_wgs_204_tpt_68_halfLds_dp_op_CI_CI_unitstride_sbrr_dirReg
                                        ; -- End function
	.section	.AMDGPU.csdata,"",@progbits
; Kernel info:
; codeLenInByte = 19644
; NumSgprs: 60
; NumVgprs: 247
; ScratchSize: 0
; MemoryBound: 1
; FloatMode: 240
; IeeeMode: 1
; LDSByteSize: 0 bytes/workgroup (compile time only)
; SGPRBlocks: 7
; VGPRBlocks: 30
; NumSGPRsForWavesPerEU: 60
; NumVGPRsForWavesPerEU: 247
; Occupancy: 5
; WaveLimiterHint : 1
; COMPUTE_PGM_RSRC2:SCRATCH_EN: 0
; COMPUTE_PGM_RSRC2:USER_SGPR: 15
; COMPUTE_PGM_RSRC2:TRAP_HANDLER: 0
; COMPUTE_PGM_RSRC2:TGID_X_EN: 1
; COMPUTE_PGM_RSRC2:TGID_Y_EN: 0
; COMPUTE_PGM_RSRC2:TGID_Z_EN: 0
; COMPUTE_PGM_RSRC2:TIDIG_COMP_CNT: 0
	.text
	.p2alignl 7, 3214868480
	.fill 96, 4, 3214868480
	.type	__hip_cuid_78569d097872ff16,@object ; @__hip_cuid_78569d097872ff16
	.section	.bss,"aw",@nobits
	.globl	__hip_cuid_78569d097872ff16
__hip_cuid_78569d097872ff16:
	.byte	0                               ; 0x0
	.size	__hip_cuid_78569d097872ff16, 1

	.ident	"AMD clang version 19.0.0git (https://github.com/RadeonOpenCompute/llvm-project roc-6.4.0 25133 c7fe45cf4b819c5991fe208aaa96edf142730f1d)"
	.section	".note.GNU-stack","",@progbits
	.addrsig
	.addrsig_sym __hip_cuid_78569d097872ff16
	.amdgpu_metadata
---
amdhsa.kernels:
  - .args:
      - .actual_access:  read_only
        .address_space:  global
        .offset:         0
        .size:           8
        .value_kind:     global_buffer
      - .offset:         8
        .size:           8
        .value_kind:     by_value
      - .actual_access:  read_only
        .address_space:  global
        .offset:         16
        .size:           8
        .value_kind:     global_buffer
      - .actual_access:  read_only
        .address_space:  global
        .offset:         24
        .size:           8
        .value_kind:     global_buffer
      - .actual_access:  read_only
        .address_space:  global
        .offset:         32
        .size:           8
        .value_kind:     global_buffer
      - .offset:         40
        .size:           8
        .value_kind:     by_value
      - .actual_access:  read_only
        .address_space:  global
        .offset:         48
        .size:           8
        .value_kind:     global_buffer
      - .actual_access:  read_only
        .address_space:  global
        .offset:         56
        .size:           8
        .value_kind:     global_buffer
      - .offset:         64
        .size:           4
        .value_kind:     by_value
      - .actual_access:  read_only
        .address_space:  global
        .offset:         72
        .size:           8
        .value_kind:     global_buffer
      - .actual_access:  read_only
        .address_space:  global
        .offset:         80
        .size:           8
        .value_kind:     global_buffer
      - .actual_access:  read_only
        .address_space:  global
        .offset:         88
        .size:           8
        .value_kind:     global_buffer
      - .actual_access:  write_only
        .address_space:  global
        .offset:         96
        .size:           8
        .value_kind:     global_buffer
    .group_segment_fixed_size: 0
    .kernarg_segment_align: 8
    .kernarg_segment_size: 104
    .language:       OpenCL C
    .language_version:
      - 2
      - 0
    .max_flat_workgroup_size: 204
    .name:           fft_rtc_back_len1156_factors_17_2_17_2_wgs_204_tpt_68_halfLds_dp_op_CI_CI_unitstride_sbrr_dirReg
    .private_segment_fixed_size: 0
    .sgpr_count:     60
    .sgpr_spill_count: 0
    .symbol:         fft_rtc_back_len1156_factors_17_2_17_2_wgs_204_tpt_68_halfLds_dp_op_CI_CI_unitstride_sbrr_dirReg.kd
    .uniform_work_group_size: 1
    .uses_dynamic_stack: false
    .vgpr_count:     247
    .vgpr_spill_count: 0
    .wavefront_size: 32
    .workgroup_processor_mode: 1
amdhsa.target:   amdgcn-amd-amdhsa--gfx1100
amdhsa.version:
  - 1
  - 2
...

	.end_amdgpu_metadata
